;; amdgpu-corpus repo=ROCm/rocFFT kind=compiled arch=gfx1030 opt=O3
	.text
	.amdgcn_target "amdgcn-amd-amdhsa--gfx1030"
	.amdhsa_code_object_version 6
	.protected	bluestein_single_back_len792_dim1_dp_op_CI_CI ; -- Begin function bluestein_single_back_len792_dim1_dp_op_CI_CI
	.globl	bluestein_single_back_len792_dim1_dp_op_CI_CI
	.p2align	8
	.type	bluestein_single_back_len792_dim1_dp_op_CI_CI,@function
bluestein_single_back_len792_dim1_dp_op_CI_CI: ; @bluestein_single_back_len792_dim1_dp_op_CI_CI
; %bb.0:
	s_load_dwordx4 s[8:11], s[4:5], 0x28
	v_mul_u32_u24_e32 v1, 0x2e9, v0
	s_mov_b64 s[42:43], s[2:3]
	s_mov_b64 s[40:41], s[0:1]
	v_mov_b32_e32 v6, 0
	s_add_u32 s40, s40, s7
	v_lshrrev_b32_e32 v2, 16, v1
	s_addc_u32 s41, s41, 0
	s_mov_b32 s0, exec_lo
	v_lshl_add_u32 v5, s6, 1, v2
	s_waitcnt lgkmcnt(0)
	v_cmpx_gt_u64_e64 s[8:9], v[5:6]
	s_cbranch_execz .LBB0_39
; %bb.1:
	s_clause 0x1
	s_load_dwordx4 s[0:3], s[4:5], 0x18
	s_load_dwordx2 s[6:7], s[4:5], 0x0
	v_mul_lo_u16 v1, 0x58, v2
	v_mov_b32_e32 v12, v5
	v_and_b32_e32 v2, 1, v2
	v_sub_nc_u16 v19, v0, v1
	v_mov_b32_e32 v11, v12
	v_and_b32_e32 v14, 0xffff, v19
	v_lshlrev_b32_e32 v15, 4, v14
	s_waitcnt lgkmcnt(0)
	s_load_dwordx4 s[12:15], s[0:1], 0x0
	s_clause 0x1
	global_load_dwordx4 v[26:29], v15, s[6:7]
	global_load_dwordx4 v[84:87], v15, s[6:7] offset:1408
	v_add_co_u32 v156, s0, s6, v15
	v_add_co_ci_u32_e64 v16, null, s7, 0, s0
	v_add_co_u32 v0, vcc_lo, 0x1800, v156
	v_add_co_ci_u32_e32 v1, vcc_lo, 0, v16, vcc_lo
	v_add_co_u32 v3, vcc_lo, 0x800, v156
	v_add_co_ci_u32_e32 v4, vcc_lo, 0, v16, vcc_lo
	v_add_co_u32 v7, vcc_lo, 0x2000, v156
	v_add_co_ci_u32_e32 v8, vcc_lo, 0, v16, vcc_lo
	s_waitcnt lgkmcnt(0)
	v_mad_u64_u32 v[5:6], null, s14, v12, 0
	buffer_store_dword v11, off, s[40:43], 0 offset:4 ; 4-byte Folded Spill
	buffer_store_dword v12, off, s[40:43], 0 offset:8 ; 4-byte Folded Spill
	v_mad_u64_u32 v[9:10], null, s12, v14, 0
	s_clause 0x1
	global_load_dwordx4 v[100:103], v[0:1], off offset:192
	global_load_dwordx4 v[92:95], v[0:1], off offset:1600
	v_add_co_u32 v22, vcc_lo, 0x1000, v156
	v_add_co_ci_u32_e32 v23, vcc_lo, 0, v16, vcc_lo
	v_add_co_u32 v20, vcc_lo, 0x2800, v156
	v_add_co_ci_u32_e32 v21, vcc_lo, 0, v16, vcc_lo
	s_clause 0x1
	global_load_dwordx4 v[88:91], v[3:4], off offset:768
	global_load_dwordx4 v[96:99], v[7:8], off offset:960
	s_mul_i32 s1, s13, 0x18c
	s_mul_hi_u32 s7, s12, 0x18c
	s_mul_i32 s0, s12, 0x18c
	s_mul_hi_u32 s9, s12, 0xfffffecc
	s_add_i32 s1, s7, s1
	s_mul_i32 s8, s13, 0xfffffecc
	s_mul_i32 s6, s12, 0xfffffecc
	s_sub_i32 s7, s9, s12
	s_add_i32 s7, s7, s8
	v_mad_u64_u32 v[11:12], null, s15, v12, v[6:7]
	v_mad_u64_u32 v[0:1], null, s13, v14, v[10:11]
	v_mov_b32_e32 v6, v11
	s_lshl_b64 s[12:13], s[0:1], 4
	s_lshl_b64 s[0:1], s[6:7], 4
	v_mov_b32_e32 v10, v0
	v_lshlrev_b64 v[0:1], 4, v[5:6]
	v_lshlrev_b64 v[3:4], 4, v[9:10]
	v_add_co_u32 v0, vcc_lo, s10, v0
	v_add_co_ci_u32_e32 v1, vcc_lo, s11, v1, vcc_lo
	v_add_co_u32 v0, vcc_lo, v0, v3
	v_add_co_ci_u32_e32 v1, vcc_lo, v1, v4, vcc_lo
	;; [unrolled: 2-line block ×3, first 2 shown]
	global_load_dwordx4 v[3:6], v[0:1], off
	v_add_co_u32 v11, vcc_lo, v9, s0
	v_add_co_ci_u32_e32 v12, vcc_lo, s1, v10, vcc_lo
	global_load_dwordx4 v[7:10], v[9:10], off
	v_add_co_u32 v17, vcc_lo, v11, s12
	v_add_co_ci_u32_e32 v18, vcc_lo, s13, v12, vcc_lo
	s_clause 0x1
	global_load_dwordx4 v[32:35], v[11:12], off
	global_load_dwordx4 v[36:39], v[17:18], off
	v_add_co_u32 v0, vcc_lo, v17, s0
	v_add_co_ci_u32_e32 v1, vcc_lo, s1, v18, vcc_lo
	v_add_co_u32 v24, vcc_lo, v0, s12
	v_add_co_ci_u32_e32 v25, vcc_lo, s13, v1, vcc_lo
	global_load_dwordx4 v[40:43], v[0:1], off
	v_add_co_u32 v11, vcc_lo, v24, s0
	v_add_co_ci_u32_e32 v12, vcc_lo, s1, v25, vcc_lo
	global_load_dwordx4 v[44:47], v[24:25], off
	global_load_dwordx4 v[48:51], v[11:12], off
	buffer_store_dword v22, off, s[40:43], 0 offset:52 ; 4-byte Folded Spill
	buffer_store_dword v23, off, s[40:43], 0 offset:56 ; 4-byte Folded Spill
	v_add_co_u32 v0, vcc_lo, v11, s12
	v_add_co_ci_u32_e32 v1, vcc_lo, s13, v12, vcc_lo
	v_cmp_eq_u32_e32 vcc_lo, 1, v2
	s_waitcnt vmcnt(6)
	v_mul_f64 v[11:12], v[5:6], v[28:29]
	v_mul_f64 v[17:18], v[3:4], v[28:29]
	s_waitcnt vmcnt(5)
	v_mul_f64 v[56:57], v[9:10], v[102:103]
	v_mul_f64 v[58:59], v[7:8], v[102:103]
	s_waitcnt vmcnt(4)
	v_mul_f64 v[60:61], v[34:35], v[86:87]
	s_waitcnt vmcnt(3)
	v_mul_f64 v[64:65], v[38:39], v[94:95]
	v_mul_f64 v[62:63], v[32:33], v[86:87]
	;; [unrolled: 1-line block ×3, first 2 shown]
	s_waitcnt vmcnt(2)
	v_mul_f64 v[68:69], v[42:43], v[90:91]
	v_fma_f64 v[2:3], v[3:4], v[26:27], v[11:12]
	v_mul_f64 v[70:71], v[40:41], v[90:91]
	s_waitcnt vmcnt(1)
	v_mul_f64 v[72:73], v[46:47], v[98:99]
	global_load_dwordx4 v[22:25], v[22:23], off offset:128
	buffer_store_dword v20, off, s[40:43], 0 offset:44 ; 4-byte Folded Spill
	buffer_store_dword v21, off, s[40:43], 0 offset:48 ; 4-byte Folded Spill
	v_mul_f64 v[74:75], v[44:45], v[98:99]
	global_load_dwordx4 v[104:107], v[20:21], off offset:320
	global_load_dwordx4 v[52:55], v[0:1], off
	buffer_store_dword v26, off, s[40:43], 0 offset:12 ; 4-byte Folded Spill
	buffer_store_dword v27, off, s[40:43], 0 offset:16 ; 4-byte Folded Spill
	;; [unrolled: 1-line block ×4, first 2 shown]
	s_waitcnt vmcnt(2)
	v_mul_f64 v[76:77], v[50:51], v[24:25]
	v_mul_f64 v[78:79], v[48:49], v[24:25]
	v_cndmask_b32_e64 v20, 0, 0x318, vcc_lo
	v_cmp_gt_u16_e32 vcc_lo, 44, v19
	v_lshlrev_b32_e32 v255, 4, v20
	v_add_nc_u32_e32 v15, v255, v15
	v_fma_f64 v[4:5], v[5:6], v[26:27], -v[17:18]
	v_fma_f64 v[6:7], v[7:8], v[100:101], v[56:57]
	buffer_store_dword v100, off, s[40:43], 0 offset:108 ; 4-byte Folded Spill
	buffer_store_dword v101, off, s[40:43], 0 offset:112 ; 4-byte Folded Spill
	;; [unrolled: 1-line block ×4, first 2 shown]
	s_waitcnt vmcnt(0)
	v_mul_f64 v[80:81], v[54:55], v[106:107]
	v_mul_f64 v[82:83], v[52:53], v[106:107]
	v_fma_f64 v[8:9], v[9:10], v[100:101], -v[58:59]
	v_fma_f64 v[10:11], v[32:33], v[84:85], v[60:61]
	buffer_store_dword v84, off, s[40:43], 0 offset:28 ; 4-byte Folded Spill
	buffer_store_dword v85, off, s[40:43], 0 offset:32 ; 4-byte Folded Spill
	buffer_store_dword v86, off, s[40:43], 0 offset:36 ; 4-byte Folded Spill
	buffer_store_dword v87, off, s[40:43], 0 offset:40 ; 4-byte Folded Spill
	v_fma_f64 v[32:33], v[36:37], v[92:93], v[64:65]
	buffer_store_dword v92, off, s[40:43], 0 offset:76 ; 4-byte Folded Spill
	buffer_store_dword v93, off, s[40:43], 0 offset:80 ; 4-byte Folded Spill
	buffer_store_dword v94, off, s[40:43], 0 offset:84 ; 4-byte Folded Spill
	buffer_store_dword v95, off, s[40:43], 0 offset:88 ; 4-byte Folded Spill
	;; [unrolled: 5-line block ×6, first 2 shown]
	s_load_dwordx2 s[6:7], s[4:5], 0x38
	s_load_dwordx4 s[8:11], s[2:3], 0x0
	v_fma_f64 v[12:13], v[34:35], v[84:85], -v[62:63]
	v_fma_f64 v[34:35], v[38:39], v[92:93], -v[66:67]
	ds_write_b128 v15, v[2:5]
	ds_write_b128 v15, v[6:9] offset:6336
	ds_write_b128 v15, v[10:13] offset:1408
	;; [unrolled: 1-line block ×3, first 2 shown]
	v_fma_f64 v[38:39], v[42:43], v[88:89], -v[70:71]
	v_fma_f64 v[42:43], v[46:47], v[96:97], -v[74:75]
	;; [unrolled: 1-line block ×4, first 2 shown]
	ds_write_b128 v15, v[36:39] offset:2816
	ds_write_b128 v15, v[40:43] offset:9152
	;; [unrolled: 1-line block ×4, first 2 shown]
	s_and_saveexec_b32 s2, vcc_lo
	s_cbranch_execz .LBB0_3
; %bb.2:
	v_add_co_u32 v0, s0, v0, s0
	v_add_co_ci_u32_e64 v1, s0, s1, v1, s0
	v_add_co_u32 v12, s0, v0, s12
	v_add_co_ci_u32_e64 v13, s0, s13, v1, s0
	global_load_dwordx4 v[0:3], v[0:1], off
	s_clause 0x1
	buffer_load_dword v4, off, s[40:43], 0 offset:52
	buffer_load_dword v5, off, s[40:43], 0 offset:56
	s_waitcnt vmcnt(0)
	global_load_dwordx4 v[4:7], v[4:5], off offset:1536
	s_clause 0x1
	buffer_load_dword v8, off, s[40:43], 0 offset:44
	buffer_load_dword v9, off, s[40:43], 0 offset:48
	s_waitcnt vmcnt(0)
	global_load_dwordx4 v[8:11], v[8:9], off offset:1728
	global_load_dwordx4 v[32:35], v[12:13], off
	v_mul_f64 v[12:13], v[2:3], v[6:7]
	v_mul_f64 v[6:7], v[0:1], v[6:7]
	v_fma_f64 v[0:1], v[0:1], v[4:5], v[12:13]
	v_fma_f64 v[2:3], v[2:3], v[4:5], -v[6:7]
	s_waitcnt vmcnt(0)
	v_mul_f64 v[17:18], v[34:35], v[10:11]
	v_mul_f64 v[10:11], v[32:33], v[10:11]
	v_fma_f64 v[4:5], v[32:33], v[8:9], v[17:18]
	v_fma_f64 v[6:7], v[34:35], v[8:9], -v[10:11]
	ds_write_b128 v15, v[0:3] offset:5632
	ds_write_b128 v15, v[4:7] offset:11968
.LBB0_3:
	s_or_b32 exec_lo, exec_lo, s2
	s_waitcnt lgkmcnt(0)
	s_waitcnt_vscnt null, 0x0
	s_barrier
	buffer_gl0_inv
	ds_read_b128 v[44:47], v15
	ds_read_b128 v[48:51], v15 offset:1408
	ds_read_b128 v[68:71], v15 offset:6336
	;; [unrolled: 1-line block ×7, first 2 shown]
                                        ; implicit-def: $vgpr52_vgpr53
                                        ; implicit-def: $vgpr56_vgpr57
	s_and_saveexec_b32 s0, vcc_lo
	s_cbranch_execz .LBB0_5
; %bb.4:
	ds_read_b128 v[52:55], v15 offset:5632
	ds_read_b128 v[56:59], v15 offset:11968
.LBB0_5:
	s_or_b32 exec_lo, exec_lo, s0
	s_waitcnt lgkmcnt(5)
	v_add_f64 v[7:8], v[44:45], -v[68:69]
	v_add_f64 v[9:10], v[46:47], -v[70:71]
	s_waitcnt lgkmcnt(4)
	v_add_f64 v[64:65], v[48:49], -v[64:65]
	v_add_f64 v[66:67], v[50:51], -v[66:67]
	;; [unrolled: 3-line block ×4, first 2 shown]
	v_add_f64 v[40:41], v[52:53], -v[56:57]
	v_add_f64 v[42:43], v[54:55], -v[58:59]
	v_add_co_u32 v0, s0, 0x58, v14
	s_load_dwordx2 s[2:3], s[4:5], 0x8
	v_add_co_ci_u32_e64 v1, null, 0, 0, s0
	v_add_co_u32 v1, s0, 0xb0, v14
	v_add_co_ci_u32_e64 v2, null, 0, 0, s0
	v_lshlrev_b32_e32 v2, 1, v14
	v_add_co_u32 v6, null, 0x160, v14
	v_fma_f64 v[44:45], v[44:45], 2.0, -v[7:8]
	v_fma_f64 v[46:47], v[46:47], 2.0, -v[9:10]
	;; [unrolled: 1-line block ×10, first 2 shown]
	v_add_nc_u32_e32 v3, 0x210, v2
	v_lshl_add_u32 v13, v14, 5, v255
	v_lshl_add_u32 v4, v0, 5, v255
	s_waitcnt lgkmcnt(0)
	s_barrier
	buffer_gl0_inv
	v_lshlrev_b32_e32 v5, 1, v0
	v_lshl_add_u32 v12, v1, 5, v255
	v_lshl_add_u32 v11, v3, 4, v255
	ds_write_b128 v13, v[7:10] offset:16
	ds_write_b128 v13, v[44:47]
	ds_write_b128 v4, v[48:51]
	buffer_store_dword v4, off, s[40:43], 0 offset:164 ; 4-byte Folded Spill
	ds_write_b128 v4, v[64:67] offset:16
	v_lshlrev_b32_e32 v4, 1, v1
	v_lshl_add_u32 v7, v6, 5, v255
	ds_write_b128 v12, v[56:59]
	buffer_store_dword v12, off, s[40:43], 0 offset:160 ; 4-byte Folded Spill
	buffer_store_dword v7, off, s[40:43], 0 offset:220 ; 4-byte Folded Spill
	ds_write_b128 v12, v[60:63] offset:16
	ds_write_b128 v11, v[36:39]
	buffer_store_dword v11, off, s[40:43], 0 offset:156 ; 4-byte Folded Spill
	ds_write_b128 v11, v[68:71] offset:16
	s_and_saveexec_b32 s0, vcc_lo
	s_cbranch_execz .LBB0_7
; %bb.6:
	v_lshl_add_u32 v7, v6, 5, v255
	ds_write_b128 v7, v[32:35]
	ds_write_b128 v7, v[40:43] offset:16
.LBB0_7:
	s_or_b32 exec_lo, exec_lo, s0
	s_waitcnt lgkmcnt(0)
	s_waitcnt_vscnt null, 0x0
	s_barrier
	buffer_gl0_inv
	ds_read_b128 v[48:51], v15
	ds_read_b128 v[52:55], v15 offset:1408
	ds_read_b128 v[64:67], v15 offset:6336
	;; [unrolled: 1-line block ×7, first 2 shown]
	s_and_saveexec_b32 s0, vcc_lo
	s_cbranch_execz .LBB0_9
; %bb.8:
	ds_read_b128 v[32:35], v15 offset:5632
	ds_read_b128 v[40:43], v15 offset:11968
.LBB0_9:
	s_or_b32 exec_lo, exec_lo, s0
	v_and_b32_e32 v13, 1, v14
	v_lshlrev_b32_e32 v6, 1, v6
	v_lshlrev_b32_e32 v7, 4, v13
	buffer_store_dword v6, off, s[40:43], 0 ; 4-byte Folded Spill
	v_and_or_b32 v6, 0xfc, v2, v13
	global_load_dwordx4 v[36:39], v7, s[2:3]
	s_waitcnt vmcnt(0) lgkmcnt(0)
	s_waitcnt_vscnt null, 0x0
	s_barrier
	buffer_gl0_inv
	v_mul_f64 v[7:8], v[66:67], v[38:39]
	v_mul_f64 v[9:10], v[64:65], v[38:39]
	;; [unrolled: 1-line block ×10, first 2 shown]
	v_fma_f64 v[7:8], v[64:65], v[36:37], -v[7:8]
	v_fma_f64 v[9:10], v[66:67], v[36:37], v[9:10]
	v_fma_f64 v[11:12], v[44:45], v[36:37], -v[11:12]
	v_fma_f64 v[17:18], v[46:47], v[36:37], v[17:18]
	;; [unrolled: 2-line block ×5, first 2 shown]
	v_add_f64 v[7:8], v[48:49], -v[7:8]
	v_add_f64 v[9:10], v[50:51], -v[9:10]
	;; [unrolled: 1-line block ×10, first 2 shown]
	v_and_or_b32 v11, 0x1fc, v5, v13
	v_and_or_b32 v12, 0x3fc, v4, v13
	;; [unrolled: 1-line block ×3, first 2 shown]
	v_lshl_add_u32 v18, v6, 4, v255
	v_lshl_add_u32 v17, v11, 4, v255
	;; [unrolled: 1-line block ×4, first 2 shown]
	buffer_store_dword v18, off, s[40:43], 0 offset:184 ; 4-byte Folded Spill
	v_fma_f64 v[48:49], v[48:49], 2.0, -v[7:8]
	v_fma_f64 v[50:51], v[50:51], 2.0, -v[9:10]
	;; [unrolled: 1-line block ×10, first 2 shown]
	ds_write_b128 v18, v[7:10] offset:32
	ds_write_b128 v18, v[48:51]
	ds_write_b128 v17, v[52:55]
	buffer_store_dword v17, off, s[40:43], 0 offset:176 ; 4-byte Folded Spill
	ds_write_b128 v17, v[64:67] offset:32
	ds_write_b128 v11, v[56:59]
	buffer_store_dword v11, off, s[40:43], 0 offset:172 ; 4-byte Folded Spill
	ds_write_b128 v11, v[68:71] offset:32
	;; [unrolled: 3-line block ×3, first 2 shown]
	s_and_saveexec_b32 s0, vcc_lo
	s_cbranch_execz .LBB0_11
; %bb.10:
	buffer_load_dword v6, off, s[40:43], 0  ; 4-byte Folded Reload
	v_and_b32_e32 v7, 1, v14
	s_waitcnt vmcnt(0)
	v_and_or_b32 v6, 0x3fc, v6, v7
	v_lshl_add_u32 v6, v6, 4, v255
	ds_write_b128 v6, v[40:43]
	ds_write_b128 v6, v[44:47] offset:32
.LBB0_11:
	s_or_b32 exec_lo, exec_lo, s0
	s_waitcnt lgkmcnt(0)
	s_waitcnt_vscnt null, 0x0
	s_barrier
	buffer_gl0_inv
	ds_read_b128 v[52:55], v15
	ds_read_b128 v[56:59], v15 offset:1408
	ds_read_b128 v[68:71], v15 offset:6336
	;; [unrolled: 1-line block ×7, first 2 shown]
	s_and_saveexec_b32 s0, vcc_lo
	s_cbranch_execz .LBB0_13
; %bb.12:
	ds_read_b128 v[40:43], v15 offset:5632
	ds_read_b128 v[44:47], v15 offset:11968
.LBB0_13:
	s_or_b32 exec_lo, exec_lo, s0
	v_and_b32_e32 v19, 3, v14
	v_lshlrev_b32_e32 v6, 4, v19
	v_and_or_b32 v2, 0xf8, v2, v19
	v_and_or_b32 v5, 0x1f8, v5, v19
	;; [unrolled: 1-line block ×4, first 2 shown]
	global_load_dwordx4 v[32:35], v6, s[2:3] offset:32
	s_waitcnt vmcnt(0) lgkmcnt(0)
	v_lshl_add_u32 v5, v5, 4, v255
	v_lshl_add_u32 v4, v4, 4, v255
	s_barrier
	buffer_gl0_inv
	v_mul_f64 v[6:7], v[70:71], v[34:35]
	v_mul_f64 v[8:9], v[68:69], v[34:35]
	;; [unrolled: 1-line block ×8, first 2 shown]
	v_fma_f64 v[6:7], v[68:69], v[32:33], -v[6:7]
	v_fma_f64 v[8:9], v[70:71], v[32:33], v[8:9]
	v_fma_f64 v[17:18], v[76:77], v[32:33], -v[17:18]
	v_fma_f64 v[68:69], v[72:73], v[32:33], -v[82:83]
	v_fma_f64 v[70:71], v[74:75], v[32:33], v[84:85]
	v_mul_f64 v[72:73], v[46:47], v[34:35]
	v_mul_f64 v[74:75], v[44:45], v[34:35]
	v_fma_f64 v[10:11], v[64:65], v[32:33], -v[10:11]
	v_fma_f64 v[12:13], v[66:67], v[32:33], v[12:13]
	v_fma_f64 v[66:67], v[78:79], v[32:33], v[80:81]
	v_add_f64 v[6:7], v[52:53], -v[6:7]
	v_add_f64 v[8:9], v[54:55], -v[8:9]
	;; [unrolled: 1-line block ×5, first 2 shown]
	v_fma_f64 v[17:18], v[44:45], v[32:33], -v[72:73]
	v_fma_f64 v[72:73], v[46:47], v[32:33], v[74:75]
	v_add_f64 v[10:11], v[56:57], -v[10:11]
	v_add_f64 v[12:13], v[58:59], -v[12:13]
	v_add_f64 v[66:67], v[62:63], -v[66:67]
	v_fma_f64 v[44:45], v[52:53], 2.0, -v[6:7]
	v_fma_f64 v[46:47], v[54:55], 2.0, -v[8:9]
	;; [unrolled: 1-line block ×4, first 2 shown]
	v_add_f64 v[96:97], v[40:41], -v[17:18]
	v_add_f64 v[98:99], v[42:43], -v[72:73]
	v_fma_f64 v[52:53], v[56:57], 2.0, -v[10:11]
	v_fma_f64 v[54:55], v[58:59], 2.0, -v[12:13]
	;; [unrolled: 1-line block ×4, first 2 shown]
	v_lshl_add_u32 v17, v2, 4, v255
	v_lshl_add_u32 v2, v3, 4, v255
	ds_write_b128 v17, v[6:9] offset:64
	buffer_store_dword v17, off, s[40:43], 0 offset:196 ; 4-byte Folded Spill
	ds_write_b128 v17, v[44:47]
	ds_write_b128 v5, v[52:55]
	buffer_store_dword v5, off, s[40:43], 0 offset:192 ; 4-byte Folded Spill
	ds_write_b128 v5, v[10:13] offset:64
	ds_write_b128 v4, v[56:59]
	buffer_store_dword v4, off, s[40:43], 0 offset:188 ; 4-byte Folded Spill
	ds_write_b128 v4, v[64:67] offset:64
	ds_write_b128 v2, v[48:51]
	buffer_store_dword v2, off, s[40:43], 0 offset:180 ; 4-byte Folded Spill
	ds_write_b128 v2, v[68:71] offset:64
	s_and_saveexec_b32 s0, vcc_lo
	s_cbranch_execz .LBB0_15
; %bb.14:
	buffer_load_dword v6, off, s[40:43], 0  ; 4-byte Folded Reload
	v_fma_f64 v[4:5], v[42:43], 2.0, -v[98:99]
	v_fma_f64 v[2:3], v[40:41], 2.0, -v[96:97]
	v_and_b32_e32 v7, 3, v14
	s_waitcnt vmcnt(0)
	v_and_or_b32 v6, 0x3f8, v6, v7
	v_lshl_add_u32 v6, v6, 4, v255
	ds_write_b128 v6, v[2:5]
	ds_write_b128 v6, v[96:99] offset:64
.LBB0_15:
	s_or_b32 exec_lo, exec_lo, s0
	v_and_b32_e32 v19, 7, v14
	s_waitcnt lgkmcnt(0)
	s_waitcnt_vscnt null, 0x0
	s_barrier
	buffer_gl0_inv
	v_mov_b32_e32 v26, 0xaaab
	v_lshlrev_b32_e32 v2, 5, v19
	v_lshrrev_b32_e32 v21, 3, v0
	v_and_b32_e32 v25, 0xff, v0
	v_and_b32_e32 v23, 0xff, v14
	v_mul_u32_u24_sdwa v26, v1, v26 dst_sel:DWORD dst_unused:UNUSED_PAD src0_sel:WORD_0 src1_sel:DWORD
	s_clause 0x1
	global_load_dwordx4 v[44:47], v2, s[2:3] offset:96
	global_load_dwordx4 v[40:43], v2, s[2:3] offset:112
	ds_read_b128 v[2:5], v15 offset:4224
	ds_read_b128 v[6:9], v15 offset:8448
	;; [unrolled: 1-line block ×7, first 2 shown]
	ds_read_b128 v[64:67], v15
	ds_read_b128 v[68:71], v15 offset:1408
	v_mul_u32_u24_e32 v21, 24, v21
	v_mul_lo_u16 v25, 0xab, v25
	v_lshrrev_b32_e32 v26, 20, v26
	s_mov_b32 s0, 0xe8584caa
	v_mul_lo_u16 v23, 0xab, v23
	s_mov_b32 s1, 0x3febb67a
	s_mov_b32 s5, 0xbfebb67a
	;; [unrolled: 1-line block ×3, first 2 shown]
	v_or_b32_e32 v27, v21, v19
	v_lshrrev_b16 v25, 12, v25
	v_mul_lo_u16 v21, v26, 24
	v_lshrrev_b32_e32 v20, 3, v14
	v_lshrrev_b32_e32 v22, 3, v1
	v_lshrrev_b16 v23, 12, v23
	v_mov_b32_e32 v24, 5
	v_sub_nc_u16 v28, v1, v21
	v_mul_u32_u24_e32 v20, 24, v20
	v_mul_u32_u24_e32 v22, 24, v22
	s_waitcnt vmcnt(0) lgkmcnt(0)
	s_barrier
	buffer_gl0_inv
	v_or_b32_e32 v20, v20, v19
	v_or_b32_e32 v1, v22, v19
	v_lshl_add_u32 v22, v27, 4, v255
                                        ; implicit-def: $vgpr132_vgpr133
	v_lshl_add_u32 v21, v20, 4, v255
	v_lshl_add_u32 v20, v1, 4, v255
	v_mul_f64 v[17:18], v[4:5], v[46:47]
	v_mul_f64 v[72:73], v[2:3], v[46:47]
	;; [unrolled: 1-line block ×12, first 2 shown]
	v_fma_f64 v[2:3], v[2:3], v[44:45], -v[17:18]
	v_fma_f64 v[4:5], v[4:5], v[44:45], v[72:73]
	v_fma_f64 v[6:7], v[6:7], v[40:41], -v[74:75]
	v_fma_f64 v[8:9], v[8:9], v[40:41], v[76:77]
	v_fma_f64 v[10:11], v[10:11], v[44:45], -v[78:79]
	v_fma_f64 v[12:13], v[12:13], v[44:45], v[80:81]
	v_fma_f64 v[17:18], v[48:49], v[40:41], -v[82:83]
	v_fma_f64 v[48:49], v[50:51], v[40:41], v[84:85]
	v_fma_f64 v[50:51], v[52:53], v[44:45], -v[86:87]
	v_fma_f64 v[52:53], v[54:55], v[44:45], v[88:89]
	v_fma_f64 v[54:55], v[56:57], v[40:41], -v[90:91]
	v_fma_f64 v[56:57], v[58:59], v[40:41], v[92:93]
	v_add_f64 v[82:83], v[64:65], v[2:3]
	v_add_f64 v[58:59], v[2:3], v[6:7]
	;; [unrolled: 1-line block ×3, first 2 shown]
	v_add_f64 v[84:85], v[4:5], -v[8:9]
	v_add_f64 v[4:5], v[66:67], v[4:5]
	v_add_f64 v[74:75], v[10:11], v[17:18]
	;; [unrolled: 1-line block ×8, first 2 shown]
	v_add_f64 v[94:95], v[50:51], -v[54:55]
	v_add_f64 v[90:91], v[60:61], v[50:51]
	v_fma_f64 v[58:59], v[58:59], -0.5, v[64:65]
	v_fma_f64 v[66:67], v[72:73], -0.5, v[66:67]
	v_add_f64 v[72:73], v[12:13], -v[48:49]
	v_add_f64 v[64:65], v[2:3], -v[6:7]
	v_fma_f64 v[68:69], v[74:75], -0.5, v[68:69]
	v_add_f64 v[74:75], v[10:11], -v[17:18]
	v_fma_f64 v[70:71], v[76:77], -0.5, v[70:71]
	;; [unrolled: 2-line block ×3, first 2 shown]
	v_fma_f64 v[80:81], v[80:81], -0.5, v[62:63]
	v_add_f64 v[2:3], v[82:83], v[6:7]
	v_add_f64 v[4:5], v[4:5], v[8:9]
	;; [unrolled: 1-line block ×6, first 2 shown]
	v_mul_lo_u16 v18, v25, 24
	v_mul_lo_u16 v17, v23, 24
	v_sub_nc_u16 v18, v0, v18
	v_fma_f64 v[48:49], v[84:85], s[0:1], v[58:59]
	v_fma_f64 v[52:53], v[84:85], s[4:5], v[58:59]
	v_lshlrev_b16 v0, 5, v28
	v_fma_f64 v[50:51], v[64:65], s[4:5], v[66:67]
	v_fma_f64 v[56:57], v[72:73], s[0:1], v[68:69]
	;; [unrolled: 1-line block ×10, first 2 shown]
	v_sub_nc_u16 v17, v14, v17
	v_and_b32_e32 v0, 0xffff, v0
	v_lshlrev_b32_sdwa v19, v24, v18 dst_sel:DWORD dst_unused:UNUSED_PAD src0_sel:DWORD src1_sel:BYTE_0
	ds_write_b128 v21, v[2:5]
	ds_write_b128 v21, v[48:51] offset:128
	ds_write_b128 v21, v[52:55] offset:256
	ds_write_b128 v22, v[6:9]
	ds_write_b128 v22, v[56:59] offset:128
	v_lshlrev_b32_sdwa v1, v24, v17 dst_sel:DWORD dst_unused:UNUSED_PAD src0_sel:DWORD src1_sel:BYTE_0
	v_add_co_u32 v0, s12, s2, v0
	buffer_store_dword v22, off, s[40:43], 0 offset:216 ; 4-byte Folded Spill
	ds_write_b128 v22, v[60:63] offset:256
	ds_write_b128 v20, v[10:13]
	ds_write_b128 v20, v[64:67] offset:128
	buffer_store_dword v20, off, s[40:43], 0 offset:208 ; 4-byte Folded Spill
	ds_write_b128 v20, v[68:71] offset:256
	s_waitcnt lgkmcnt(0)
	s_waitcnt_vscnt null, 0x0
	s_barrier
	buffer_gl0_inv
	s_clause 0x1
	global_load_dwordx4 v[52:55], v1, s[2:3] offset:368
	global_load_dwordx4 v[64:67], v1, s[2:3] offset:352
	v_add_co_ci_u32_e64 v1, null, s3, 0, s12
	s_clause 0x3
	global_load_dwordx4 v[60:63], v19, s[2:3] offset:352
	global_load_dwordx4 v[56:59], v19, s[2:3] offset:368
	global_load_dwordx4 v[72:75], v[0:1], off offset:352
	global_load_dwordx4 v[68:71], v[0:1], off offset:368
	ds_read_b128 v[0:3], v15 offset:4224
	ds_read_b128 v[4:7], v15 offset:8448
	;; [unrolled: 1-line block ×7, first 2 shown]
	v_mov_b32_e32 v19, 0x48
	v_mad_u16 v22, 0x48, v26, v28
	v_mul_u32_u24_sdwa v20, v23, v19 dst_sel:DWORD dst_unused:UNUSED_PAD src0_sel:WORD_0 src1_sel:DWORD
	v_mul_u32_u24_sdwa v19, v25, v19 dst_sel:DWORD dst_unused:UNUSED_PAD src0_sel:WORD_0 src1_sel:DWORD
	s_waitcnt vmcnt(5) lgkmcnt(5)
	v_mul_f64 v[88:89], v[6:7], v[54:55]
	s_waitcnt vmcnt(4)
	v_mul_f64 v[12:13], v[2:3], v[66:67]
	v_mul_f64 v[90:91], v[0:1], v[66:67]
	;; [unrolled: 1-line block ×3, first 2 shown]
	s_waitcnt vmcnt(3) lgkmcnt(4)
	v_mul_f64 v[94:95], v[10:11], v[62:63]
	s_waitcnt vmcnt(2) lgkmcnt(3)
	v_mul_f64 v[100:101], v[50:51], v[58:59]
	v_mul_f64 v[102:103], v[8:9], v[62:63]
	;; [unrolled: 1-line block ×3, first 2 shown]
	s_waitcnt vmcnt(1) lgkmcnt(2)
	v_mul_f64 v[106:107], v[78:79], v[74:75]
	s_waitcnt vmcnt(0) lgkmcnt(1)
	v_mul_f64 v[108:109], v[82:83], v[70:71]
	v_mul_f64 v[110:111], v[76:77], v[74:75]
	;; [unrolled: 1-line block ×3, first 2 shown]
	v_fma_f64 v[88:89], v[4:5], v[52:53], -v[88:89]
	v_fma_f64 v[12:13], v[0:1], v[64:65], -v[12:13]
	v_fma_f64 v[90:91], v[2:3], v[64:65], v[90:91]
	v_fma_f64 v[92:93], v[6:7], v[52:53], v[92:93]
	v_fma_f64 v[8:9], v[8:9], v[60:61], -v[94:95]
	v_fma_f64 v[48:49], v[48:49], v[56:57], -v[100:101]
	v_fma_f64 v[10:11], v[10:11], v[60:61], v[102:103]
	v_fma_f64 v[50:51], v[50:51], v[56:57], v[104:105]
	;; [unrolled: 4-line block ×3, first 2 shown]
	ds_read_b128 v[0:3], v15
	ds_read_b128 v[4:7], v15 offset:1408
	s_waitcnt lgkmcnt(0)
	s_barrier
	buffer_gl0_inv
	v_add_f64 v[94:95], v[12:13], v[88:89]
	v_add_f64 v[100:101], v[90:91], v[92:93]
	v_add_f64 v[116:117], v[90:91], -v[92:93]
	v_add_f64 v[102:103], v[8:9], v[48:49]
	v_add_f64 v[104:105], v[10:11], v[50:51]
	;; [unrolled: 1-line block ×10, first 2 shown]
	v_add_f64 v[12:13], v[12:13], -v[88:89]
	v_add_f64 v[10:11], v[10:11], -v[50:51]
	;; [unrolled: 1-line block ×5, first 2 shown]
	v_fma_f64 v[0:1], v[94:95], -0.5, v[0:1]
	v_fma_f64 v[2:3], v[100:101], -0.5, v[2:3]
	;; [unrolled: 1-line block ×5, first 2 shown]
	v_add_f64 v[124:125], v[110:111], v[88:89]
	v_fma_f64 v[86:87], v[108:109], -0.5, v[86:87]
	v_add_f64 v[126:127], v[90:91], v[92:93]
	v_add_f64 v[100:101], v[112:113], v[48:49]
	;; [unrolled: 1-line block ×5, first 2 shown]
	v_fma_f64 v[92:93], v[116:117], s[0:1], v[0:1]
	v_fma_f64 v[128:129], v[116:117], s[4:5], v[0:1]
	;; [unrolled: 1-line block ×12, first 2 shown]
	v_add_nc_u32_sdwa v0, v20, v17 dst_sel:DWORD dst_unused:UNUSED_PAD src0_sel:DWORD src1_sel:BYTE_0
	v_add_nc_u32_sdwa v1, v19, v18 dst_sel:DWORD dst_unused:UNUSED_PAD src0_sel:DWORD src1_sel:BYTE_0
	v_and_b32_e32 v2, 0xffff, v22
	v_cmp_gt_u16_e64 s0, 0x48, v14
	v_lshl_add_u32 v3, v0, 4, v255
	v_lshl_add_u32 v1, v1, 4, v255
	;; [unrolled: 1-line block ×3, first 2 shown]
	ds_write_b128 v3, v[124:127]
	ds_write_b128 v3, v[92:95] offset:384
	buffer_store_dword v3, off, s[40:43], 0 offset:212 ; 4-byte Folded Spill
	ds_write_b128 v3, v[128:131] offset:768
	ds_write_b128 v1, v[100:103]
	ds_write_b128 v1, v[104:107] offset:384
	buffer_store_dword v1, off, s[40:43], 0 offset:204 ; 4-byte Folded Spill
	ds_write_b128 v1, v[116:119] offset:768
	ds_write_b128 v0, v[112:115]
	ds_write_b128 v0, v[108:111] offset:384
	buffer_store_dword v0, off, s[40:43], 0 offset:200 ; 4-byte Folded Spill
	ds_write_b128 v0, v[120:123] offset:768
	s_waitcnt lgkmcnt(0)
	s_waitcnt_vscnt null, 0x0
	s_barrier
	buffer_gl0_inv
	s_and_saveexec_b32 s1, s0
	s_cbranch_execz .LBB0_17
; %bb.16:
	ds_read_b128 v[124:127], v15
	ds_read_b128 v[92:95], v15 offset:1152
	ds_read_b128 v[128:131], v15 offset:2304
	ds_read_b128 v[100:103], v15 offset:3456
	ds_read_b128 v[104:107], v15 offset:4608
	ds_read_b128 v[116:119], v15 offset:5760
	ds_read_b128 v[112:115], v15 offset:6912
	ds_read_b128 v[108:111], v15 offset:8064
	ds_read_b128 v[120:123], v15 offset:9216
	ds_read_b128 v[96:99], v15 offset:10368
	ds_read_b128 v[132:135], v15 offset:11520
.LBB0_17:
	s_or_b32 exec_lo, exec_lo, s1
	v_add_nc_u32_e32 v0, 0xffffffb8, v14
	s_mov_b32 s14, 0xf8bb580b
	s_mov_b32 s15, 0xbfe14ced
	;; [unrolled: 1-line block ×4, first 2 shown]
	v_cndmask_b32_e64 v0, v0, v14, s0
	s_mov_b32 s5, 0x3feaeb8c
	s_mov_b32 s13, 0xbfed1bb4
	s_mov_b32 s18, 0x43842ef
	s_mov_b32 s19, 0xbfefac9e
	v_mul_i32_i24_e32 v1, 0xa0, v0
	v_mul_hi_i32_i24_e32 v2, 0xa0, v0
	s_mov_b32 s16, 0x640f44db
	s_mov_b32 s17, 0xbfc2375f
	;; [unrolled: 1-line block ×3, first 2 shown]
	v_add_co_u32 v0, s1, s2, v1
	v_add_co_ci_u32_e64 v1, s1, s3, v2, s1
	s_mov_b32 s2, 0xd9c712b6
	s_mov_b32 s3, 0x3fda9628
	;; [unrolled: 1-line block ×3, first 2 shown]
	s_clause 0x4
	global_load_dwordx4 v[48:51], v[0:1], off offset:1120
	global_load_dwordx4 v[88:91], v[0:1], off offset:1264
	;; [unrolled: 1-line block ×5, first 2 shown]
	s_mov_b32 s20, 0x7f775887
	s_mov_b32 s21, 0xbfe4f49e
	;; [unrolled: 1-line block ×14, first 2 shown]
	s_waitcnt vmcnt(4) lgkmcnt(9)
	v_mul_f64 v[2:3], v[94:95], v[50:51]
	v_mul_f64 v[4:5], v[92:93], v[50:51]
	s_waitcnt vmcnt(3) lgkmcnt(0)
	v_mul_f64 v[6:7], v[132:133], v[90:91]
	v_mul_f64 v[8:9], v[134:135], v[90:91]
	v_fma_f64 v[169:170], v[92:93], v[48:49], -v[2:3]
	v_fma_f64 v[171:172], v[94:95], v[48:49], v[4:5]
	s_waitcnt vmcnt(2)
	v_mul_f64 v[2:3], v[130:131], v[78:79]
	v_mul_f64 v[4:5], v[128:129], v[78:79]
	v_fma_f64 v[22:23], v[134:135], v[88:89], v[6:7]
	v_fma_f64 v[19:20], v[132:133], v[88:89], -v[8:9]
	s_waitcnt vmcnt(1)
	v_mul_f64 v[6:7], v[96:97], v[82:83]
	v_mul_f64 v[8:9], v[98:99], v[82:83]
	global_load_dwordx4 v[92:95], v[0:1], off offset:1168
	v_fma_f64 v[140:141], v[128:129], v[76:77], -v[2:3]
	v_fma_f64 v[146:147], v[130:131], v[76:77], v[4:5]
	s_waitcnt vmcnt(1)
	v_mul_f64 v[2:3], v[102:103], v[86:87]
	v_mul_f64 v[4:5], v[100:101], v[86:87]
	v_fma_f64 v[26:27], v[98:99], v[80:81], v[6:7]
	v_fma_f64 v[24:25], v[96:97], v[80:81], -v[8:9]
	v_add_f64 v[243:244], v[171:172], -v[22:23]
	v_add_f64 v[237:238], v[169:170], v[19:20]
	v_fma_f64 v[136:137], v[100:101], v[84:85], -v[2:3]
	v_fma_f64 v[138:139], v[102:103], v[84:85], v[4:5]
	s_clause 0x1
	global_load_dwordx4 v[96:99], v[0:1], off offset:1232
	global_load_dwordx4 v[100:103], v[0:1], off offset:1216
	v_add_f64 v[175:176], v[146:147], -v[26:27]
	v_mul_f64 v[249:250], v[243:244], s[14:15]
	v_add_f64 v[173:174], v[140:141], v[24:25]
	v_add_f64 v[4:5], v[169:170], -v[19:20]
	v_add_f64 v[203:204], v[140:141], -v[24:25]
	v_add_f64 v[201:202], v[146:147], v[26:27]
	v_mul_f64 v[195:196], v[175:176], s[12:13]
	v_mul_f64 v[235:236], v[175:176], s[28:29]
	;; [unrolled: 1-line block ×6, first 2 shown]
	v_fma_f64 v[10:11], v[201:202], s[2:3], -v[215:216]
	v_fma_f64 v[223:224], v[201:202], s[22:23], -v[159:160]
	s_waitcnt vmcnt(1)
	v_mul_f64 v[2:3], v[120:121], v[98:99]
	v_fma_f64 v[142:143], v[122:123], v[96:97], v[2:3]
	v_mul_f64 v[2:3], v[122:123], v[98:99]
	v_add_f64 v[179:180], v[138:139], -v[142:143]
	v_fma_f64 v[144:145], v[120:121], v[96:97], -v[2:3]
	v_mul_f64 v[2:3], v[106:107], v[94:95]
	v_add_f64 v[189:190], v[138:139], v[142:143]
	v_fma_f64 v[120:121], v[173:174], s[22:23], v[157:158]
	v_mul_f64 v[217:218], v[179:180], s[18:19]
	v_add_f64 v[177:178], v[136:137], v[144:145]
	v_fma_f64 v[152:153], v[104:105], v[92:93], -v[2:3]
	v_mul_f64 v[2:3], v[104:105], v[94:95]
	v_add_f64 v[207:208], v[136:137], -v[144:145]
	v_mul_f64 v[219:220], v[179:180], s[26:27]
	v_mul_f64 v[245:246], v[179:180], s[30:31]
	v_fma_f64 v[154:155], v[106:107], v[92:93], v[2:3]
	s_waitcnt vmcnt(0)
	v_mul_f64 v[2:3], v[110:111], v[102:103]
	v_mul_f64 v[227:228], v[207:208], s[18:19]
	;; [unrolled: 1-line block ×4, first 2 shown]
	v_fma_f64 v[148:149], v[108:109], v[100:101], -v[2:3]
	v_mul_f64 v[2:3], v[108:109], v[102:103]
	v_add_f64 v[181:182], v[152:153], v[148:149]
	v_fma_f64 v[150:151], v[110:111], v[100:101], v[2:3]
	s_clause 0x1
	global_load_dwordx4 v[104:107], v[0:1], off offset:1184
	global_load_dwordx4 v[108:111], v[0:1], off offset:1200
	v_fma_f64 v[2:3], v[173:174], s[2:3], v[195:196]
	v_add_f64 v[199:200], v[152:153], -v[148:149]
	v_add_f64 v[183:184], v[154:155], -v[150:151]
	v_add_f64 v[193:194], v[154:155], v[150:151]
	v_mul_f64 v[241:242], v[199:200], s[28:29]
	v_mul_f64 v[213:214], v[199:200], s[36:37]
	;; [unrolled: 1-line block ×6, first 2 shown]
	s_waitcnt vmcnt(1)
	v_mul_f64 v[0:1], v[118:119], v[106:107]
	v_fma_f64 v[165:166], v[116:117], v[104:105], -v[0:1]
	v_mul_f64 v[0:1], v[116:117], v[106:107]
	v_fma_f64 v[116:117], v[201:202], s[20:21], -v[247:248]
	v_fma_f64 v[167:168], v[118:119], v[104:105], v[0:1]
	s_waitcnt vmcnt(0)
	v_mul_f64 v[0:1], v[114:115], v[110:111]
	v_fma_f64 v[161:162], v[112:113], v[108:109], -v[0:1]
	v_mul_f64 v[0:1], v[112:113], v[110:111]
	v_add_f64 v[185:186], v[165:166], v[161:162]
	v_fma_f64 v[163:164], v[114:115], v[108:109], v[0:1]
	v_fma_f64 v[0:1], v[237:238], s[4:5], v[249:250]
	v_add_f64 v[197:198], v[165:166], -v[161:162]
	v_add_f64 v[187:188], v[167:168], -v[163:164]
	v_add_f64 v[0:1], v[124:125], v[0:1]
	v_add_f64 v[191:192], v[167:168], v[163:164]
	v_mul_f64 v[251:252], v[197:198], s[24:25]
	v_mul_f64 v[209:210], v[197:198], s[34:35]
	;; [unrolled: 1-line block ×3, first 2 shown]
	v_add_f64 v[6:7], v[2:3], v[0:1]
	v_add_f64 v[2:3], v[171:172], v[22:23]
	v_mul_f64 v[0:1], v[4:5], s[14:15]
	v_mul_f64 v[205:206], v[187:188], s[34:35]
	v_fma_f64 v[8:9], v[2:3], s[4:5], -v[0:1]
	v_add_f64 v[8:9], v[126:127], v[8:9]
	v_add_f64 v[8:9], v[10:11], v[8:9]
	v_fma_f64 v[10:11], v[177:178], s[16:17], v[217:218]
	v_add_f64 v[6:7], v[10:11], v[6:7]
	v_fma_f64 v[10:11], v[189:190], s[16:17], -v[227:228]
	v_add_f64 v[8:9], v[10:11], v[8:9]
	v_fma_f64 v[10:11], v[181:182], s[20:21], v[229:230]
	v_add_f64 v[6:7], v[10:11], v[6:7]
	v_fma_f64 v[10:11], v[193:194], s[20:21], -v[241:242]
	;; [unrolled: 4-line block ×3, first 2 shown]
	v_fma_f64 v[10:11], v[173:174], s[20:21], v[235:236]
	v_add_f64 v[114:115], v[6:7], v[8:9]
	v_mul_f64 v[6:7], v[243:244], s[12:13]
	v_fma_f64 v[8:9], v[237:238], s[2:3], v[6:7]
	v_add_f64 v[8:9], v[124:125], v[8:9]
	v_add_f64 v[10:11], v[10:11], v[8:9]
	v_mul_f64 v[8:9], v[4:5], s[12:13]
	v_fma_f64 v[12:13], v[2:3], s[2:3], -v[8:9]
	v_add_f64 v[12:13], v[126:127], v[12:13]
	v_add_f64 v[12:13], v[116:117], v[12:13]
	v_fma_f64 v[116:117], v[177:178], s[22:23], v[219:220]
	v_add_f64 v[10:11], v[116:117], v[10:11]
	v_fma_f64 v[116:117], v[189:190], s[22:23], -v[221:222]
	v_add_f64 v[12:13], v[116:117], v[12:13]
	v_fma_f64 v[116:117], v[181:182], s[16:17], v[211:212]
	v_add_f64 v[10:11], v[116:117], v[10:11]
	v_fma_f64 v[116:117], v[193:194], s[16:17], -v[213:214]
	;; [unrolled: 4-line block ×3, first 2 shown]
	v_add_f64 v[118:119], v[10:11], v[12:13]
	v_mul_f64 v[10:11], v[243:244], s[18:19]
	v_fma_f64 v[12:13], v[237:238], s[16:17], v[10:11]
	v_add_f64 v[12:13], v[124:125], v[12:13]
	v_add_f64 v[120:121], v[120:121], v[12:13]
	v_mul_f64 v[12:13], v[4:5], s[18:19]
	v_fma_f64 v[122:123], v[2:3], s[16:17], -v[12:13]
	v_add_f64 v[122:123], v[126:127], v[122:123]
	v_add_f64 v[122:123], v[223:224], v[122:123]
	v_fma_f64 v[223:224], v[177:178], s[2:3], v[245:246]
	v_add_f64 v[120:121], v[223:224], v[120:121]
	v_fma_f64 v[223:224], v[189:190], s[2:3], -v[253:254]
	v_add_f64 v[122:123], v[223:224], v[122:123]
	v_fma_f64 v[223:224], v[181:182], s[4:5], v[231:232]
	v_add_f64 v[120:121], v[223:224], v[120:121]
	v_fma_f64 v[223:224], v[193:194], s[4:5], -v[233:234]
	v_add_f64 v[122:123], v[223:224], v[122:123]
	v_mul_f64 v[223:224], v[187:188], s[28:29]
	v_fma_f64 v[225:226], v[185:186], s[20:21], v[223:224]
	v_add_f64 v[120:121], v[225:226], v[120:121]
	v_mul_f64 v[225:226], v[197:198], s[28:29]
	v_fma_f64 v[17:18], v[191:192], s[20:21], -v[225:226]
	v_add_f64 v[122:123], v[17:18], v[122:123]
	s_and_saveexec_b32 s1, s0
	s_cbranch_execz .LBB0_19
; %bb.18:
	buffer_store_dword v19, off, s[40:43], 0 offset:224 ; 4-byte Folded Spill
	buffer_store_dword v20, off, s[40:43], 0 offset:228 ; 4-byte Folded Spill
	;; [unrolled: 1-line block ×4, first 2 shown]
	v_mul_f64 v[17:18], v[2:3], s[22:23]
	v_mul_f64 v[22:23], v[2:3], s[20:21]
	s_mov_b32 s39, 0x3fe82f19
	s_mov_b32 s38, s28
	buffer_store_dword v24, off, s[40:43], 0 offset:240 ; 4-byte Folded Spill
	buffer_store_dword v25, off, s[40:43], 0 offset:244 ; 4-byte Folded Spill
	;; [unrolled: 1-line block ×4, first 2 shown]
	v_mul_f64 v[26:27], v[243:244], s[28:29]
	v_add_f64 v[169:170], v[124:125], v[169:170]
	v_add_f64 v[171:172], v[126:127], v[171:172]
	v_mul_f64 v[128:129], v[191:192], s[16:17]
	v_mul_f64 v[130:131], v[187:188], s[18:19]
	v_fma_f64 v[19:20], v[4:5], s[26:27], v[17:18]
	v_fma_f64 v[17:18], v[4:5], s[24:25], v[17:18]
	;; [unrolled: 1-line block ×4, first 2 shown]
	v_mul_f64 v[22:23], v[2:3], s[16:17]
	v_add_f64 v[140:141], v[169:170], v[140:141]
	v_mul_f64 v[169:170], v[201:202], s[16:17]
	v_add_f64 v[146:147], v[171:172], v[146:147]
	v_add_f64 v[19:20], v[126:127], v[19:20]
	;; [unrolled: 1-line block ×6, first 2 shown]
	v_mul_f64 v[22:23], v[2:3], s[2:3]
	v_mul_f64 v[2:3], v[2:3], s[4:5]
	v_add_f64 v[136:137], v[140:141], v[136:137]
	v_fma_f64 v[171:172], v[203:204], s[18:19], v[169:170]
	v_fma_f64 v[169:170], v[203:204], s[36:37], v[169:170]
	v_add_f64 v[138:139], v[146:147], v[138:139]
	v_mul_f64 v[140:141], v[179:180], s[14:15]
	v_add_f64 v[12:13], v[126:127], v[12:13]
	v_add_f64 v[8:9], v[8:9], v[22:23]
	v_mul_f64 v[22:23], v[237:238], s[2:3]
	v_add_f64 v[0:1], v[0:1], v[2:3]
	v_mul_f64 v[2:3], v[237:238], s[4:5]
	v_add_f64 v[136:137], v[136:137], v[152:153]
	v_add_f64 v[4:5], v[169:170], v[4:5]
	v_fma_f64 v[146:147], v[177:178], s[4:5], -v[140:141]
	v_add_f64 v[24:25], v[171:172], v[24:25]
	v_mul_f64 v[152:153], v[193:194], s[4:5]
	v_fma_f64 v[140:141], v[177:178], s[4:5], v[140:141]
	v_add_f64 v[8:9], v[126:127], v[8:9]
	v_add_f64 v[6:7], v[22:23], -v[6:7]
	v_mul_f64 v[22:23], v[237:238], s[16:17]
	v_add_f64 v[2:3], v[2:3], -v[249:250]
	v_fma_f64 v[249:250], v[237:238], s[20:21], -v[26:27]
	v_fma_f64 v[26:27], v[237:238], s[20:21], v[26:27]
	v_add_f64 v[126:127], v[126:127], v[0:1]
	v_add_f64 v[152:153], v[233:234], v[152:153]
	;; [unrolled: 1-line block ×3, first 2 shown]
	v_add_f64 v[10:11], v[22:23], -v[10:11]
	v_mul_f64 v[22:23], v[243:244], s[24:25]
	v_add_f64 v[249:250], v[124:125], v[249:250]
	v_add_f64 v[26:27], v[124:125], v[26:27]
	;; [unrolled: 1-line block ×3, first 2 shown]
	v_fma_f64 v[243:244], v[237:238], s[22:23], v[22:23]
	v_fma_f64 v[22:23], v[237:238], s[22:23], -v[22:23]
	v_add_f64 v[237:238], v[124:125], v[243:244]
	v_add_f64 v[22:23], v[124:125], v[22:23]
	;; [unrolled: 1-line block ×3, first 2 shown]
	v_mul_f64 v[124:125], v[201:202], s[4:5]
	v_fma_f64 v[0:1], v[203:204], s[14:15], v[124:125]
	v_fma_f64 v[124:125], v[203:204], s[34:35], v[124:125]
	v_mul_f64 v[203:204], v[201:202], s[22:23]
	v_add_f64 v[0:1], v[0:1], v[19:20]
	v_mul_f64 v[19:20], v[175:176], s[34:35]
	v_add_f64 v[159:160], v[159:160], v[203:204]
	v_mul_f64 v[203:204], v[173:174], s[22:23]
	v_mul_f64 v[175:176], v[175:176], s[36:37]
	v_add_f64 v[17:18], v[124:125], v[17:18]
	v_mul_f64 v[124:125], v[189:190], s[2:3]
	v_fma_f64 v[2:3], v[173:174], s[4:5], v[19:20]
	v_fma_f64 v[19:20], v[173:174], s[4:5], -v[19:20]
	v_add_f64 v[157:158], v[203:204], -v[157:158]
	v_mul_f64 v[203:204], v[173:174], s[20:21]
	v_add_f64 v[12:13], v[159:160], v[12:13]
	v_add_f64 v[124:125], v[253:254], v[124:125]
	;; [unrolled: 1-line block ×3, first 2 shown]
	v_mul_f64 v[237:238], v[189:190], s[20:21]
	v_add_f64 v[19:20], v[19:20], v[22:23]
	v_add_f64 v[203:204], v[203:204], -v[235:236]
	v_fma_f64 v[235:236], v[173:174], s[16:17], -v[175:176]
	v_add_f64 v[10:11], v[157:158], v[10:11]
	v_add_f64 v[12:13], v[124:125], v[12:13]
	v_mul_f64 v[124:125], v[181:182], s[4:5]
	v_fma_f64 v[28:29], v[207:208], s[38:39], v[237:238]
	v_add_f64 v[6:7], v[203:204], v[6:7]
	v_add_f64 v[12:13], v[152:153], v[12:13]
	v_add_f64 v[124:125], v[124:125], -v[231:232]
	v_add_f64 v[0:1], v[28:29], v[0:1]
	v_mul_f64 v[28:29], v[179:180], s[28:29]
	v_fma_f64 v[30:31], v[177:178], s[20:21], v[28:29]
	v_fma_f64 v[28:29], v[177:178], s[20:21], -v[28:29]
	v_add_f64 v[2:3], v[30:31], v[2:3]
	v_mul_f64 v[30:31], v[193:194], s[2:3]
	v_add_f64 v[19:20], v[28:29], v[19:20]
	v_fma_f64 v[132:133], v[199:200], s[12:13], v[30:31]
	v_fma_f64 v[30:31], v[199:200], s[30:31], v[30:31]
	v_add_f64 v[0:1], v[132:133], v[0:1]
	v_mul_f64 v[132:133], v[183:184], s[30:31]
	v_fma_f64 v[134:135], v[181:182], s[2:3], v[132:133]
	v_add_f64 v[134:135], v[134:135], v[2:3]
	v_fma_f64 v[2:3], v[197:198], s[36:37], v[128:129]
	v_fma_f64 v[128:129], v[197:198], s[18:19], v[128:129]
	v_add_f64 v[2:3], v[2:3], v[0:1]
	v_fma_f64 v[0:1], v[185:186], s[16:17], v[130:131]
	v_add_f64 v[0:1], v[0:1], v[134:135]
	v_mul_f64 v[134:135], v[201:202], s[2:3]
	v_mul_f64 v[201:202], v[201:202], s[20:21]
	v_add_f64 v[134:135], v[215:216], v[134:135]
	v_mul_f64 v[215:216], v[173:174], s[2:3]
	v_fma_f64 v[173:174], v[173:174], s[16:17], v[175:176]
	v_fma_f64 v[175:176], v[207:208], s[28:29], v[237:238]
	v_mul_f64 v[237:238], v[189:190], s[4:5]
	v_add_f64 v[201:202], v[247:248], v[201:202]
	v_add_f64 v[22:23], v[134:135], v[126:127]
	v_add_f64 v[195:196], v[215:216], -v[195:196]
	v_mul_f64 v[215:216], v[189:190], s[16:17]
	v_add_f64 v[134:135], v[138:139], v[154:155]
	v_add_f64 v[17:18], v[175:176], v[17:18]
	v_fma_f64 v[247:248], v[207:208], s[34:35], v[237:238]
	v_fma_f64 v[207:208], v[207:208], s[14:15], v[237:238]
	v_add_f64 v[138:139], v[235:236], v[249:250]
	v_add_f64 v[8:9], v[201:202], v[8:9]
	v_mul_f64 v[154:155], v[193:194], s[16:17]
	v_add_f64 v[26:27], v[173:174], v[26:27]
	v_add_f64 v[126:127], v[195:196], v[243:244]
	;; [unrolled: 1-line block ×3, first 2 shown]
	v_mul_f64 v[227:228], v[177:178], s[16:17]
	v_add_f64 v[17:18], v[30:31], v[17:18]
	v_fma_f64 v[30:31], v[181:182], s[2:3], -v[132:133]
	v_mul_f64 v[132:133], v[177:178], s[2:3]
	v_add_f64 v[4:5], v[207:208], v[4:5]
	v_add_f64 v[24:25], v[247:248], v[24:25]
	;; [unrolled: 1-line block ×4, first 2 shown]
	v_mul_f64 v[140:141], v[191:192], s[2:3]
	v_add_f64 v[22:23], v[215:216], v[22:23]
	v_add_f64 v[217:218], v[227:228], -v[217:218]
	v_mul_f64 v[227:228], v[193:194], s[20:21]
	v_add_f64 v[19:20], v[30:31], v[19:20]
	v_add_f64 v[132:133], v[132:133], -v[245:246]
	v_add_f64 v[28:29], v[217:218], v[126:127]
	v_add_f64 v[126:127], v[134:135], v[167:168]
	;; [unrolled: 1-line block ×5, first 2 shown]
	v_mul_f64 v[136:137], v[177:178], s[22:23]
	v_add_f64 v[227:228], v[241:242], v[227:228]
	v_mul_f64 v[241:242], v[181:182], s[20:21]
	v_add_f64 v[30:31], v[126:127], v[163:164]
	v_add_f64 v[126:127], v[134:135], v[161:162]
	v_mul_f64 v[134:135], v[189:190], s[22:23]
	v_add_f64 v[124:125], v[124:125], v[10:11]
	v_add_f64 v[136:137], v[136:137], -v[219:220]
	v_add_f64 v[22:23], v[227:228], v[22:23]
	v_add_f64 v[229:230], v[241:242], -v[229:230]
	v_mul_f64 v[241:242], v[191:192], s[22:23]
	v_add_f64 v[30:31], v[30:31], v[150:151]
	v_add_f64 v[126:127], v[126:127], v[148:149]
	v_mul_f64 v[148:149], v[193:194], s[22:23]
	v_add_f64 v[134:135], v[221:222], v[134:135]
	v_add_f64 v[6:7], v[136:137], v[6:7]
	v_mul_f64 v[136:137], v[183:184], s[24:25]
	v_add_f64 v[28:29], v[229:230], v[28:29]
	v_add_f64 v[241:242], v[251:252], v[241:242]
	v_mul_f64 v[251:252], v[185:186], s[22:23]
	v_add_f64 v[30:31], v[30:31], v[142:143]
	v_add_f64 v[126:127], v[126:127], v[144:145]
	v_fma_f64 v[150:151], v[199:200], s[26:27], v[148:149]
	v_fma_f64 v[148:149], v[199:200], s[24:25], v[148:149]
	v_add_f64 v[8:9], v[134:135], v[8:9]
	v_mul_f64 v[134:135], v[181:182], s[16:17]
	v_fma_f64 v[138:139], v[181:182], s[22:23], -v[136:137]
	v_fma_f64 v[136:137], v[181:182], s[22:23], v[136:137]
	v_add_f64 v[239:240], v[251:252], -v[239:240]
	v_fma_f64 v[142:143], v[197:198], s[12:13], v[140:141]
	v_fma_f64 v[140:141], v[197:198], s[30:31], v[140:141]
	v_add_f64 v[10:11], v[241:242], v[22:23]
	v_add_f64 v[24:25], v[150:151], v[24:25]
	;; [unrolled: 1-line block ×3, first 2 shown]
	v_mul_f64 v[4:5], v[191:192], s[20:21]
	v_add_f64 v[152:153], v[154:155], v[8:9]
	v_fma_f64 v[8:9], v[185:186], s[16:17], -v[130:131]
	v_add_f64 v[134:135], v[134:135], -v[211:212]
	v_add_f64 v[26:27], v[136:137], v[26:27]
	v_add_f64 v[132:133], v[138:139], v[132:133]
	;; [unrolled: 1-line block ×4, first 2 shown]
	v_mul_f64 v[4:5], v[185:186], s[20:21]
	v_add_f64 v[134:135], v[134:135], v[6:7]
	v_add_f64 v[6:7], v[128:129], v[17:18]
	;; [unrolled: 1-line block ×3, first 2 shown]
	v_add_f64 v[148:149], v[4:5], -v[223:224]
	v_mul_f64 v[4:5], v[191:192], s[4:5]
	v_add_f64 v[128:129], v[148:149], v[124:125]
	v_add_f64 v[150:151], v[209:210], v[4:5]
	v_mul_f64 v[4:5], v[185:186], s[4:5]
	v_add_f64 v[138:139], v[150:151], v[152:153]
	v_add_f64 v[154:155], v[4:5], -v[205:206]
	v_mul_f64 v[4:5], v[187:188], s[30:31]
	v_add_f64 v[136:137], v[154:155], v[134:135]
	v_fma_f64 v[157:158], v[185:186], s[2:3], -v[4:5]
	v_fma_f64 v[159:160], v[185:186], s[2:3], v[4:5]
	s_clause 0x1
	buffer_load_dword v4, off, s[40:43], 0 offset:248
	buffer_load_dword v5, off, s[40:43], 0 offset:252
	v_add_f64 v[124:125], v[157:158], v[132:133]
	s_waitcnt vmcnt(0)
	v_add_f64 v[30:31], v[30:31], v[4:5]
	s_clause 0x3
	buffer_load_dword v4, off, s[40:43], 0 offset:240
	buffer_load_dword v5, off, s[40:43], 0 offset:244
	;; [unrolled: 1-line block ×4, first 2 shown]
	s_waitcnt vmcnt(2)
	v_add_f64 v[161:162], v[126:127], v[4:5]
	s_waitcnt vmcnt(0)
	v_add_f64 v[134:135], v[30:31], v[12:13]
	s_clause 0x1
	buffer_load_dword v12, off, s[40:43], 0 offset:224
	buffer_load_dword v13, off, s[40:43], 0 offset:228
	v_add_f64 v[4:5], v[8:9], v[19:20]
	v_add_f64 v[8:9], v[239:240], v[28:29]
	;; [unrolled: 1-line block ×4, first 2 shown]
	s_waitcnt vmcnt(0)
	v_add_f64 v[132:133], v[161:162], v[12:13]
	v_lshl_add_u32 v12, v14, 4, v255
	ds_write_b128 v12, v[8:11] offset:1152
	ds_write_b128 v12, v[136:139] offset:2304
	;; [unrolled: 1-line block ×7, first 2 shown]
	ds_write_b128 v15, v[132:135]
	ds_write_b128 v12, v[120:123] offset:9216
	ds_write_b128 v12, v[116:119] offset:10368
	;; [unrolled: 1-line block ×3, first 2 shown]
.LBB0_19:
	s_or_b32 exec_lo, exec_lo, s1
	v_add_co_u32 v0, s1, 0x3180, v156
	v_add_co_ci_u32_e64 v1, s1, 0, v16, s1
	v_add_co_u32 v2, s1, 0x3000, v156
	v_add_co_ci_u32_e64 v3, s1, 0, v16, s1
	;; [unrolled: 2-line block ×4, first 2 shown]
	s_waitcnt lgkmcnt(0)
	s_waitcnt_vscnt null, 0x0
	s_barrier
	buffer_gl0_inv
	s_clause 0x4
	global_load_dwordx4 v[2:5], v[2:3], off offset:384
	global_load_dwordx4 v[6:9], v[0:1], off offset:1408
	;; [unrolled: 1-line block ×5, first 2 shown]
	v_add_co_u32 v17, s1, 0x5000, v156
	v_add_co_ci_u32_e64 v18, s1, 0, v16, s1
	v_add_co_u32 v19, s1, 0x4000, v156
	v_add_co_ci_u32_e64 v20, s1, 0, v16, s1
	v_add_co_u32 v22, s1, 0x5800, v156
	v_add_co_ci_u32_e64 v23, s1, 0, v16, s1
	s_clause 0x2
	global_load_dwordx4 v[132:135], v[17:18], off offset:1344
	global_load_dwordx4 v[136:139], v[19:20], off offset:512
	;; [unrolled: 1-line block ×3, first 2 shown]
	ds_read_b128 v[144:147], v15
	ds_read_b128 v[148:151], v15 offset:6336
	ds_read_b128 v[152:155], v15 offset:1408
	;; [unrolled: 1-line block ×7, first 2 shown]
	s_waitcnt vmcnt(7) lgkmcnt(7)
	v_mul_f64 v[16:17], v[146:147], v[4:5]
	v_mul_f64 v[4:5], v[144:145], v[4:5]
	s_waitcnt vmcnt(5) lgkmcnt(6)
	v_mul_f64 v[18:19], v[150:151], v[12:13]
	v_mul_f64 v[12:13], v[148:149], v[12:13]
	s_waitcnt lgkmcnt(5)
	v_mul_f64 v[22:23], v[154:155], v[8:9]
	v_mul_f64 v[24:25], v[152:153], v[8:9]
	s_waitcnt vmcnt(4) lgkmcnt(4)
	v_mul_f64 v[26:27], v[158:159], v[126:127]
	v_mul_f64 v[28:29], v[156:157], v[126:127]
	s_waitcnt vmcnt(3) lgkmcnt(3)
	;; [unrolled: 3-line block ×5, first 2 shown]
	v_mul_f64 v[178:179], v[174:175], v[142:143]
	v_mul_f64 v[180:181], v[172:173], v[142:143]
	v_fma_f64 v[142:143], v[144:145], v[2:3], -v[16:17]
	v_fma_f64 v[144:145], v[146:147], v[2:3], v[4:5]
	v_fma_f64 v[2:3], v[148:149], v[10:11], -v[18:19]
	v_fma_f64 v[4:5], v[150:151], v[10:11], v[12:13]
	;; [unrolled: 2-line block ×8, first 2 shown]
	ds_write_b128 v15, v[142:145]
	ds_write_b128 v15, v[2:5] offset:6336
	ds_write_b128 v15, v[8:11] offset:1408
	;; [unrolled: 1-line block ×7, first 2 shown]
	s_and_saveexec_b32 s2, vcc_lo
	s_cbranch_execz .LBB0_21
; %bb.20:
	v_add_co_u32 v2, s1, 0x1000, v0
	v_add_co_ci_u32_e64 v3, s1, 0, v1, s1
	v_add_co_u32 v4, s1, 0x2800, v0
	v_add_co_ci_u32_e64 v5, s1, 0, v1, s1
	s_clause 0x1
	global_load_dwordx4 v[0:3], v[2:3], off offset:1536
	global_load_dwordx4 v[4:7], v[4:5], off offset:1728
	ds_read_b128 v[8:11], v15 offset:5632
	ds_read_b128 v[124:127], v15 offset:11968
	s_waitcnt vmcnt(1) lgkmcnt(1)
	v_mul_f64 v[12:13], v[10:11], v[2:3]
	v_mul_f64 v[2:3], v[8:9], v[2:3]
	s_waitcnt vmcnt(0) lgkmcnt(0)
	v_mul_f64 v[16:17], v[126:127], v[6:7]
	v_mul_f64 v[18:19], v[124:125], v[6:7]
	v_fma_f64 v[6:7], v[8:9], v[0:1], -v[12:13]
	v_fma_f64 v[8:9], v[10:11], v[0:1], v[2:3]
	v_fma_f64 v[0:1], v[124:125], v[4:5], -v[16:17]
	v_fma_f64 v[2:3], v[126:127], v[4:5], v[18:19]
	ds_write_b128 v15, v[6:9] offset:5632
	ds_write_b128 v15, v[0:3] offset:11968
.LBB0_21:
	s_or_b32 exec_lo, exec_lo, s2
	s_waitcnt lgkmcnt(0)
	s_barrier
	buffer_gl0_inv
	ds_read_b128 v[128:131], v15
	ds_read_b128 v[132:135], v15 offset:1408
	ds_read_b128 v[152:155], v15 offset:6336
	;; [unrolled: 1-line block ×7, first 2 shown]
	s_and_saveexec_b32 s1, vcc_lo
	s_cbranch_execz .LBB0_23
; %bb.22:
	v_lshl_add_u32 v0, v14, 4, v255
	ds_read_b128 v[120:123], v0 offset:5632
	ds_read_b128 v[116:119], v0 offset:11968
.LBB0_23:
	s_or_b32 exec_lo, exec_lo, s1
	s_waitcnt lgkmcnt(5)
	v_add_f64 v[0:1], v[128:129], -v[152:153]
	v_add_f64 v[2:3], v[130:131], -v[154:155]
	v_lshl_add_u32 v12, v14, 5, v255
	s_waitcnt lgkmcnt(0)
	s_barrier
	buffer_gl0_inv
	v_add_f64 v[4:5], v[132:133], -v[148:149]
	v_add_f64 v[6:7], v[134:135], -v[150:151]
	;; [unrolled: 1-line block ×8, first 2 shown]
	v_fma_f64 v[128:129], v[128:129], 2.0, -v[0:1]
	v_fma_f64 v[130:131], v[130:131], 2.0, -v[2:3]
	ds_write_b128 v12, v[0:3] offset:16
	ds_write_b128 v12, v[128:131]
	buffer_load_dword v0, off, s[40:43], 0 offset:164 ; 4-byte Folded Reload
	v_fma_f64 v[132:133], v[132:133], 2.0, -v[4:5]
	v_fma_f64 v[134:135], v[134:135], 2.0, -v[6:7]
	;; [unrolled: 1-line block ×8, first 2 shown]
	s_waitcnt vmcnt(0)
	ds_write_b128 v0, v[132:135]
	ds_write_b128 v0, v[4:7] offset:16
	buffer_load_dword v0, off, s[40:43], 0 offset:160 ; 4-byte Folded Reload
	s_waitcnt vmcnt(0)
	ds_write_b128 v0, v[136:139]
	ds_write_b128 v0, v[8:11] offset:16
	buffer_load_dword v0, off, s[40:43], 0 offset:156 ; 4-byte Folded Reload
	s_waitcnt vmcnt(0)
	ds_write_b128 v0, v[140:143]
	ds_write_b128 v0, v[144:147] offset:16
	s_and_saveexec_b32 s1, vcc_lo
	s_cbranch_execz .LBB0_25
; %bb.24:
	buffer_load_dword v0, off, s[40:43], 0 offset:220 ; 4-byte Folded Reload
	s_waitcnt vmcnt(0)
	ds_write_b128 v0, v[116:119]
	ds_write_b128 v0, v[124:127] offset:16
.LBB0_25:
	s_or_b32 exec_lo, exec_lo, s1
	s_waitcnt lgkmcnt(0)
	s_barrier
	buffer_gl0_inv
	ds_read_b128 v[120:123], v15
	ds_read_b128 v[128:131], v15 offset:1408
	ds_read_b128 v[144:147], v15 offset:6336
	;; [unrolled: 1-line block ×7, first 2 shown]
	s_and_saveexec_b32 s1, vcc_lo
	s_cbranch_execz .LBB0_27
; %bb.26:
	ds_read_b128 v[116:119], v15 offset:5632
	ds_read_b128 v[124:127], v15 offset:11968
.LBB0_27:
	s_or_b32 exec_lo, exec_lo, s1
	s_waitcnt lgkmcnt(0)
	v_mul_f64 v[12:13], v[38:39], v[150:151]
	v_mul_f64 v[18:19], v[38:39], v[126:127]
	;; [unrolled: 1-line block ×3, first 2 shown]
	s_barrier
	buffer_gl0_inv
	v_mul_f64 v[0:1], v[38:39], v[146:147]
	v_mul_f64 v[2:3], v[38:39], v[144:145]
	;; [unrolled: 1-line block ×7, first 2 shown]
	v_fma_f64 v[12:13], v[36:37], v[148:149], v[12:13]
	v_fma_f64 v[18:19], v[36:37], v[124:125], v[18:19]
	v_fma_f64 v[22:23], v[36:37], v[126:127], -v[22:23]
	v_fma_f64 v[0:1], v[36:37], v[144:145], v[0:1]
	v_fma_f64 v[2:3], v[36:37], v[146:147], -v[2:3]
	;; [unrolled: 2-line block ×4, first 2 shown]
	v_fma_f64 v[16:17], v[36:37], v[150:151], -v[16:17]
	v_add_f64 v[124:125], v[136:137], -v[12:13]
	buffer_load_dword v12, off, s[40:43], 0 offset:184 ; 4-byte Folded Reload
	v_add_f64 v[36:37], v[116:117], -v[18:19]
	v_add_f64 v[38:39], v[118:119], -v[22:23]
	;; [unrolled: 1-line block ×9, first 2 shown]
	v_fma_f64 v[136:137], v[136:137], 2.0, -v[124:125]
	v_fma_f64 v[116:117], v[116:117], 2.0, -v[36:37]
	;; [unrolled: 1-line block ×10, first 2 shown]
	s_waitcnt vmcnt(0)
	ds_write_b128 v12, v[0:3] offset:32
	ds_write_b128 v12, v[120:123]
	buffer_load_dword v0, off, s[40:43], 0 offset:176 ; 4-byte Folded Reload
	s_waitcnt vmcnt(0)
	ds_write_b128 v0, v[128:131]
	ds_write_b128 v0, v[4:7] offset:32
	buffer_load_dword v0, off, s[40:43], 0 offset:172 ; 4-byte Folded Reload
	s_waitcnt vmcnt(0)
	ds_write_b128 v0, v[132:135]
	ds_write_b128 v0, v[8:11] offset:32
	;; [unrolled: 4-line block ×3, first 2 shown]
	s_and_saveexec_b32 s1, vcc_lo
	s_cbranch_execz .LBB0_29
; %bb.28:
	buffer_load_dword v0, off, s[40:43], 0  ; 4-byte Folded Reload
	v_and_b32_e32 v1, 1, v14
	s_waitcnt vmcnt(0)
	v_and_or_b32 v0, 0x3fc, v0, v1
	v_lshl_add_u32 v0, v0, 4, v255
	ds_write_b128 v0, v[116:119]
	ds_write_b128 v0, v[36:39] offset:32
.LBB0_29:
	s_or_b32 exec_lo, exec_lo, s1
	s_waitcnt lgkmcnt(0)
	s_barrier
	buffer_gl0_inv
	ds_read_b128 v[124:127], v15
	ds_read_b128 v[128:131], v15 offset:1408
	ds_read_b128 v[140:143], v15 offset:6336
	;; [unrolled: 1-line block ×7, first 2 shown]
	s_and_saveexec_b32 s1, vcc_lo
	s_cbranch_execz .LBB0_31
; %bb.30:
	ds_read_b128 v[116:119], v15 offset:5632
	ds_read_b128 v[36:39], v15 offset:11968
.LBB0_31:
	s_or_b32 exec_lo, exec_lo, s1
	s_waitcnt lgkmcnt(0)
	v_mul_f64 v[12:13], v[34:35], v[146:147]
	v_mul_f64 v[4:5], v[34:35], v[138:139]
	;; [unrolled: 1-line block ×5, first 2 shown]
	s_barrier
	buffer_gl0_inv
	v_mul_f64 v[0:1], v[34:35], v[142:143]
	v_mul_f64 v[2:3], v[34:35], v[140:141]
	;; [unrolled: 1-line block ×5, first 2 shown]
	v_fma_f64 v[12:13], v[32:33], v[144:145], v[12:13]
	v_fma_f64 v[4:5], v[32:33], v[136:137], v[4:5]
	v_fma_f64 v[6:7], v[32:33], v[138:139], -v[6:7]
	v_fma_f64 v[0:1], v[32:33], v[140:141], v[0:1]
	v_fma_f64 v[2:3], v[32:33], v[142:143], -v[2:3]
	v_fma_f64 v[16:17], v[32:33], v[146:147], -v[16:17]
	v_fma_f64 v[8:9], v[32:33], v[148:149], v[8:9]
	v_fma_f64 v[10:11], v[32:33], v[150:151], -v[10:11]
	v_add_f64 v[136:137], v[120:121], -v[12:13]
	v_fma_f64 v[12:13], v[32:33], v[36:37], v[18:19]
	v_add_f64 v[4:5], v[128:129], -v[4:5]
	v_add_f64 v[6:7], v[130:131], -v[6:7]
	;; [unrolled: 1-line block ×5, first 2 shown]
	v_fma_f64 v[16:17], v[32:33], v[38:39], -v[22:23]
	v_add_f64 v[8:9], v[132:133], -v[8:9]
	v_add_f64 v[10:11], v[134:135], -v[10:11]
	v_fma_f64 v[120:121], v[120:121], 2.0, -v[136:137]
	v_add_f64 v[36:37], v[116:117], -v[12:13]
	buffer_load_dword v12, off, s[40:43], 0 offset:196 ; 4-byte Folded Reload
	v_fma_f64 v[32:33], v[124:125], 2.0, -v[0:1]
	v_fma_f64 v[34:35], v[126:127], 2.0, -v[2:3]
	;; [unrolled: 1-line block ×7, first 2 shown]
	v_add_f64 v[38:39], v[118:119], -v[16:17]
	s_waitcnt vmcnt(0)
	ds_write_b128 v12, v[0:3] offset:64
	ds_write_b128 v12, v[32:35]
	buffer_load_dword v0, off, s[40:43], 0 offset:192 ; 4-byte Folded Reload
	s_waitcnt vmcnt(0)
	ds_write_b128 v0, v[124:127]
	ds_write_b128 v0, v[4:7] offset:64
	buffer_load_dword v0, off, s[40:43], 0 offset:188 ; 4-byte Folded Reload
	s_waitcnt vmcnt(0)
	ds_write_b128 v0, v[128:131]
	ds_write_b128 v0, v[8:11] offset:64
	;; [unrolled: 4-line block ×3, first 2 shown]
	s_and_saveexec_b32 s1, vcc_lo
	s_cbranch_execz .LBB0_33
; %bb.32:
	buffer_load_dword v4, off, s[40:43], 0  ; 4-byte Folded Reload
	v_fma_f64 v[2:3], v[118:119], 2.0, -v[38:39]
	v_fma_f64 v[0:1], v[116:117], 2.0, -v[36:37]
	v_and_b32_e32 v5, 3, v14
	s_waitcnt vmcnt(0)
	v_and_or_b32 v4, 0x3f8, v4, v5
	v_lshl_add_u32 v4, v4, 4, v255
	ds_write_b128 v4, v[0:3]
	ds_write_b128 v4, v[36:39] offset:64
.LBB0_33:
	s_or_b32 exec_lo, exec_lo, s1
	s_waitcnt lgkmcnt(0)
	s_barrier
	buffer_gl0_inv
	ds_read_b128 v[0:3], v15 offset:4224
	ds_read_b128 v[4:7], v15 offset:8448
	;; [unrolled: 1-line block ×7, first 2 shown]
	s_mov_b32 s2, 0xe8584caa
	s_mov_b32 s3, 0xbfebb67a
	;; [unrolled: 1-line block ×4, first 2 shown]
	s_waitcnt lgkmcnt(6)
	v_mul_f64 v[12:13], v[46:47], v[2:3]
	s_waitcnt lgkmcnt(5)
	v_mul_f64 v[16:17], v[42:43], v[6:7]
	v_mul_f64 v[18:19], v[46:47], v[0:1]
	v_mul_f64 v[22:23], v[42:43], v[4:5]
	s_waitcnt lgkmcnt(4)
	v_mul_f64 v[24:25], v[46:47], v[10:11]
	s_waitcnt lgkmcnt(3)
	v_mul_f64 v[26:27], v[42:43], v[34:35]
	v_mul_f64 v[28:29], v[46:47], v[8:9]
	v_mul_f64 v[30:31], v[42:43], v[32:33]
	;; [unrolled: 6-line block ×3, first 2 shown]
	v_fma_f64 v[12:13], v[44:45], v[0:1], v[12:13]
	v_fma_f64 v[16:17], v[40:41], v[4:5], v[16:17]
	v_fma_f64 v[18:19], v[44:45], v[2:3], -v[18:19]
	v_fma_f64 v[22:23], v[40:41], v[6:7], -v[22:23]
	v_fma_f64 v[8:9], v[44:45], v[8:9], v[24:25]
	v_fma_f64 v[24:25], v[40:41], v[32:33], v[26:27]
	ds_read_b128 v[0:3], v15
	ds_read_b128 v[4:7], v15 offset:1408
	v_fma_f64 v[26:27], v[40:41], v[34:35], -v[30:31]
	v_fma_f64 v[10:11], v[44:45], v[10:11], -v[28:29]
	v_fma_f64 v[30:31], v[40:41], v[120:121], v[130:131]
	v_fma_f64 v[32:33], v[44:45], v[118:119], -v[46:47]
	v_fma_f64 v[34:35], v[40:41], v[122:123], -v[42:43]
	s_waitcnt lgkmcnt(0)
	s_barrier
	buffer_gl0_inv
	v_fma_f64 v[28:29], v[44:45], v[116:117], v[128:129]
	v_add_f64 v[40:41], v[12:13], v[16:17]
	v_add_f64 v[42:43], v[18:19], v[22:23]
	;; [unrolled: 1-line block ×3, first 2 shown]
	v_add_f64 v[122:123], v[18:19], -v[22:23]
	v_add_f64 v[18:19], v[2:3], v[18:19]
	v_add_f64 v[12:13], v[12:13], -v[16:17]
	v_add_f64 v[46:47], v[10:11], v[26:27]
	v_add_f64 v[130:131], v[6:7], v[10:11]
	v_add_f64 v[134:135], v[126:127], v[32:33]
	v_add_f64 v[118:119], v[32:33], v[34:35]
	v_add_f64 v[136:137], v[10:11], -v[26:27]
	v_add_f64 v[144:145], v[32:33], -v[34:35]
	v_add_f64 v[44:45], v[8:9], v[24:25]
	v_add_f64 v[128:129], v[4:5], v[8:9]
	v_add_f64 v[140:141], v[8:9], -v[24:25]
	v_add_f64 v[116:117], v[28:29], v[30:31]
	v_add_f64 v[132:133], v[124:125], v[28:29]
	v_add_f64 v[28:29], v[28:29], -v[30:31]
	v_fma_f64 v[40:41], v[40:41], -0.5, v[0:1]
	v_fma_f64 v[42:43], v[42:43], -0.5, v[2:3]
	v_add_f64 v[0:1], v[120:121], v[16:17]
	v_add_f64 v[2:3], v[18:19], v[22:23]
	v_fma_f64 v[142:143], v[46:47], -0.5, v[6:7]
	v_add_f64 v[6:7], v[130:131], v[26:27]
	v_add_f64 v[10:11], v[134:135], v[34:35]
	v_fma_f64 v[126:127], v[118:119], -0.5, v[126:127]
	v_fma_f64 v[138:139], v[44:45], -0.5, v[4:5]
	v_add_f64 v[4:5], v[128:129], v[24:25]
	v_fma_f64 v[124:125], v[116:117], -0.5, v[124:125]
	v_add_f64 v[8:9], v[132:133], v[30:31]
	v_fma_f64 v[32:33], v[122:123], s[2:3], v[40:41]
	v_fma_f64 v[40:41], v[122:123], s[4:5], v[40:41]
	;; [unrolled: 1-line block ×4, first 2 shown]
	ds_write_b128 v21, v[0:3]
	ds_write_b128 v21, v[32:35] offset:128
	ds_write_b128 v21, v[40:43] offset:256
	buffer_load_dword v0, off, s[40:43], 0 offset:216 ; 4-byte Folded Reload
	v_fma_f64 v[44:45], v[136:137], s[2:3], v[138:139]
	v_fma_f64 v[46:47], v[140:141], s[4:5], v[142:143]
	;; [unrolled: 1-line block ×8, first 2 shown]
	s_waitcnt vmcnt(0)
	ds_write_b128 v0, v[4:7]
	ds_write_b128 v0, v[44:47] offset:128
	ds_write_b128 v0, v[116:119] offset:256
	buffer_load_dword v0, off, s[40:43], 0 offset:208 ; 4-byte Folded Reload
	s_waitcnt vmcnt(0)
	ds_write_b128 v0, v[8:11]
	ds_write_b128 v0, v[120:123] offset:128
	ds_write_b128 v0, v[124:127] offset:256
	s_waitcnt lgkmcnt(0)
	s_barrier
	buffer_gl0_inv
	ds_read_b128 v[0:3], v15 offset:4224
	ds_read_b128 v[4:7], v15 offset:8448
	;; [unrolled: 1-line block ×7, first 2 shown]
	s_waitcnt lgkmcnt(6)
	v_mul_f64 v[12:13], v[66:67], v[2:3]
	s_waitcnt lgkmcnt(5)
	v_mul_f64 v[16:17], v[54:55], v[6:7]
	v_mul_f64 v[18:19], v[66:67], v[0:1]
	v_mul_f64 v[20:21], v[54:55], v[4:5]
	s_waitcnt lgkmcnt(4)
	v_mul_f64 v[22:23], v[62:63], v[10:11]
	s_waitcnt lgkmcnt(3)
	v_mul_f64 v[24:25], v[58:59], v[34:35]
	v_mul_f64 v[26:27], v[62:63], v[8:9]
	;; [unrolled: 1-line block ×3, first 2 shown]
	s_waitcnt lgkmcnt(2)
	v_mul_f64 v[30:31], v[74:75], v[42:43]
	v_mul_f64 v[58:59], v[74:75], v[40:41]
	s_waitcnt lgkmcnt(1)
	v_mul_f64 v[54:55], v[70:71], v[46:47]
	v_mul_f64 v[62:63], v[70:71], v[44:45]
	v_fma_f64 v[12:13], v[64:65], v[0:1], v[12:13]
	v_fma_f64 v[16:17], v[52:53], v[4:5], v[16:17]
	v_fma_f64 v[18:19], v[64:65], v[2:3], -v[18:19]
	v_fma_f64 v[20:21], v[52:53], v[6:7], -v[20:21]
	v_fma_f64 v[8:9], v[60:61], v[8:9], v[22:23]
	v_fma_f64 v[22:23], v[56:57], v[32:33], v[24:25]
	v_fma_f64 v[10:11], v[60:61], v[10:11], -v[26:27]
	v_fma_f64 v[24:25], v[56:57], v[34:35], -v[28:29]
	v_fma_f64 v[26:27], v[72:73], v[40:41], v[30:31]
	v_fma_f64 v[30:31], v[72:73], v[42:43], -v[58:59]
	ds_read_b128 v[0:3], v15
	ds_read_b128 v[4:7], v15 offset:1408
	v_fma_f64 v[28:29], v[68:69], v[44:45], v[54:55]
	v_fma_f64 v[44:45], v[68:69], v[46:47], -v[62:63]
	s_waitcnt lgkmcnt(0)
	s_barrier
	buffer_gl0_inv
	v_add_f64 v[32:33], v[12:13], v[16:17]
	v_add_f64 v[56:57], v[18:19], -v[20:21]
	v_add_f64 v[34:35], v[18:19], v[20:21]
	v_add_f64 v[40:41], v[8:9], v[22:23]
	;; [unrolled: 1-line block ×8, first 2 shown]
	v_add_f64 v[12:13], v[12:13], -v[16:17]
	v_add_f64 v[58:59], v[4:5], v[8:9]
	v_add_f64 v[46:47], v[26:27], v[28:29]
	v_add_f64 v[10:11], v[10:11], -v[24:25]
	v_add_f64 v[8:9], v[8:9], -v[22:23]
	v_add_f64 v[52:53], v[30:31], v[44:45]
	v_add_f64 v[30:31], v[30:31], -v[44:45]
	v_add_f64 v[26:27], v[26:27], -v[28:29]
	v_fma_f64 v[0:1], v[32:33], -0.5, v[0:1]
	v_fma_f64 v[2:3], v[34:35], -0.5, v[2:3]
	;; [unrolled: 1-line block ×4, first 2 shown]
	v_add_f64 v[32:33], v[54:55], v[16:17]
	v_add_f64 v[42:43], v[60:61], v[24:25]
	;; [unrolled: 1-line block ×6, first 2 shown]
	v_fma_f64 v[70:71], v[46:47], -0.5, v[116:117]
	v_fma_f64 v[74:75], v[52:53], -0.5, v[118:119]
	v_fma_f64 v[64:65], v[56:57], s[2:3], v[0:1]
	v_fma_f64 v[56:57], v[56:57], s[4:5], v[0:1]
	buffer_load_dword v0, off, s[40:43], 0 offset:212 ; 4-byte Folded Reload
	v_fma_f64 v[66:67], v[12:13], s[4:5], v[2:3]
	v_fma_f64 v[58:59], v[12:13], s[2:3], v[2:3]
	;; [unrolled: 1-line block ×6, first 2 shown]
	s_waitcnt vmcnt(0)
	ds_write_b128 v0, v[32:35]
	ds_write_b128 v0, v[64:67] offset:384
	ds_write_b128 v0, v[56:59] offset:768
	buffer_load_dword v0, off, s[40:43], 0 offset:204 ; 4-byte Folded Reload
	v_fma_f64 v[68:69], v[30:31], s[2:3], v[70:71]
	v_fma_f64 v[72:73], v[30:31], s[4:5], v[70:71]
	;; [unrolled: 1-line block ×4, first 2 shown]
	s_waitcnt vmcnt(0)
	ds_write_b128 v0, v[40:43]
	ds_write_b128 v0, v[44:47] offset:384
	ds_write_b128 v0, v[52:55] offset:768
	buffer_load_dword v0, off, s[40:43], 0 offset:200 ; 4-byte Folded Reload
	s_waitcnt vmcnt(0)
	ds_write_b128 v0, v[60:63]
	ds_write_b128 v0, v[68:71] offset:384
	ds_write_b128 v0, v[72:75] offset:768
	s_waitcnt lgkmcnt(0)
	s_barrier
	buffer_gl0_inv
	s_and_saveexec_b32 s1, s0
	s_cbranch_execz .LBB0_35
; %bb.34:
	ds_read_b128 v[32:35], v15
	ds_read_b128 v[64:67], v15 offset:1152
	ds_read_b128 v[56:59], v15 offset:2304
	;; [unrolled: 1-line block ×10, first 2 shown]
.LBB0_35:
	s_or_b32 exec_lo, exec_lo, s1
	s_and_saveexec_b32 s33, s0
	s_cbranch_execz .LBB0_37
; %bb.36:
	s_waitcnt lgkmcnt(9)
	v_mul_f64 v[0:1], v[50:51], v[66:67]
	s_waitcnt lgkmcnt(0)
	v_mul_f64 v[2:3], v[90:91], v[114:115]
	v_mul_f64 v[4:5], v[50:51], v[64:65]
	;; [unrolled: 1-line block ×13, first 2 shown]
	s_mov_b32 s22, 0xfd768dbf
	s_mov_b32 s23, 0xbfd207e7
	v_mul_f64 v[16:17], v[110:111], v[60:61]
	v_mul_f64 v[20:21], v[102:103], v[70:71]
	s_mov_b32 s14, 0xbb3a28a1
	s_mov_b32 s12, 0xf8bb580b
	;; [unrolled: 1-line block ×4, first 2 shown]
	v_fma_f64 v[0:1], v[48:49], v[64:65], v[0:1]
	v_fma_f64 v[50:51], v[88:89], v[112:113], v[2:3]
	v_fma_f64 v[2:3], v[48:49], v[66:67], -v[4:5]
	v_fma_f64 v[48:49], v[88:89], v[114:115], -v[6:7]
	v_mul_f64 v[4:5], v[94:95], v[44:45]
	v_mul_f64 v[64:65], v[98:99], v[74:75]
	;; [unrolled: 1-line block ×3, first 2 shown]
	v_fma_f64 v[22:23], v[76:77], v[56:57], v[22:23]
	v_fma_f64 v[36:37], v[80:81], v[36:37], v[24:25]
	v_fma_f64 v[24:25], v[76:77], v[58:59], -v[26:27]
	v_fma_f64 v[38:39], v[80:81], v[38:39], -v[28:29]
	v_mul_f64 v[6:7], v[102:103], v[68:69]
	v_fma_f64 v[8:9], v[104:105], v[52:53], v[8:9]
	v_fma_f64 v[10:11], v[108:109], v[60:61], v[10:11]
	v_fma_f64 v[12:13], v[104:105], v[54:55], -v[12:13]
	v_fma_f64 v[18:19], v[92:93], v[44:45], v[18:19]
	v_fma_f64 v[30:31], v[84:85], v[40:41], v[30:31]
	s_mov_b32 s13, 0x3fe14ced
	s_mov_b32 s19, 0xbfeeb42a
	v_fma_f64 v[20:21], v[100:101], v[68:69], v[20:21]
	s_mov_b32 s16, 0x43842ef
	s_mov_b32 s2, 0x7f775887
	;; [unrolled: 1-line block ×3, first 2 shown]
	v_add_f64 v[26:27], v[0:1], -v[50:51]
	v_add_f64 v[56:57], v[0:1], v[50:51]
	v_add_f64 v[28:29], v[2:3], -v[48:49]
	v_fma_f64 v[4:5], v[92:93], v[46:47], -v[4:5]
	v_fma_f64 v[40:41], v[96:97], v[72:73], v[64:65]
	v_fma_f64 v[44:45], v[84:85], v[42:43], -v[66:67]
	v_fma_f64 v[42:43], v[96:97], v[74:75], -v[78:79]
	v_add_f64 v[46:47], v[22:23], -v[36:37]
	v_add_f64 v[54:55], v[2:3], v[48:49]
	v_add_f64 v[52:53], v[24:25], -v[38:39]
	v_fma_f64 v[6:7], v[100:101], v[70:71], -v[6:7]
	v_add_f64 v[68:69], v[24:25], v[38:39]
	v_add_f64 v[76:77], v[22:23], v[36:37]
	s_mov_b32 s17, 0xbfefac9e
	s_mov_b32 s3, 0xbfe4f49e
	;; [unrolled: 1-line block ×5, first 2 shown]
	v_add_f64 v[64:65], v[18:19], -v[20:21]
	s_mov_b32 s0, 0x640f44db
	s_mov_b32 s1, 0xbfc2375f
	;; [unrolled: 1-line block ×3, first 2 shown]
	v_mul_f64 v[58:59], v[26:27], s[22:23]
	v_mul_f64 v[98:99], v[26:27], s[14:15]
	;; [unrolled: 1-line block ×4, first 2 shown]
	v_add_f64 v[66:67], v[30:31], -v[40:41]
	v_add_f64 v[96:97], v[30:31], v[40:41]
	v_add_f64 v[74:75], v[44:45], -v[42:43]
	v_mul_f64 v[78:79], v[46:47], s[12:13]
	v_add_f64 v[90:91], v[44:45], v[42:43]
	v_mul_f64 v[80:81], v[52:53], s[12:13]
	v_add_f64 v[72:73], v[4:5], -v[6:7]
	v_mul_f64 v[124:125], v[26:27], s[16:17]
	v_mul_f64 v[126:127], v[46:47], s[26:27]
	;; [unrolled: 1-line block ×3, first 2 shown]
	s_mov_b32 s24, 0x8eee2c13
	s_mov_b32 s29, 0xbfe14ced
	;; [unrolled: 1-line block ×5, first 2 shown]
	v_fma_f64 v[16:17], v[108:109], v[62:63], -v[16:17]
	v_add_f64 v[84:85], v[4:5], v[6:7]
	v_add_f64 v[94:95], v[18:19], v[20:21]
	v_fma_f64 v[86:87], v[54:55], s[18:19], v[58:59]
	v_fma_f64 v[58:59], v[54:55], s[18:19], -v[58:59]
	v_fma_f64 v[88:89], v[56:57], s[18:19], -v[60:61]
	v_fma_f64 v[60:61], v[56:57], s[18:19], v[60:61]
	v_mul_f64 v[104:105], v[66:67], s[14:15]
	v_fma_f64 v[128:129], v[54:55], s[2:3], v[98:99]
	v_mul_f64 v[112:113], v[74:75], s[14:15]
	v_fma_f64 v[114:115], v[68:69], s[4:5], v[78:79]
	v_fma_f64 v[78:79], v[68:69], s[4:5], -v[78:79]
	v_fma_f64 v[116:117], v[76:77], s[4:5], -v[80:81]
	v_fma_f64 v[80:81], v[76:77], s[4:5], v[80:81]
	v_add_f64 v[2:3], v[34:35], v[2:3]
	v_add_f64 v[0:1], v[32:33], v[0:1]
	v_mul_f64 v[102:103], v[64:65], s[24:25]
	v_mul_f64 v[108:109], v[72:73], s[24:25]
	;; [unrolled: 1-line block ×4, first 2 shown]
	v_fma_f64 v[142:143], v[56:57], s[2:3], -v[110:111]
	v_fma_f64 v[98:99], v[54:55], s[2:3], -v[98:99]
	v_fma_f64 v[110:111], v[56:57], s[2:3], v[110:111]
	v_fma_f64 v[146:147], v[68:69], s[0:1], v[126:127]
	v_fma_f64 v[150:151], v[56:57], s[0:1], -v[136:137]
	v_add_f64 v[86:87], v[34:35], v[86:87]
	v_add_f64 v[58:59], v[34:35], v[58:59]
	v_add_f64 v[88:89], v[32:33], v[88:89]
	v_add_f64 v[60:61], v[32:33], v[60:61]
	v_fma_f64 v[140:141], v[90:91], s[2:3], v[104:105]
	v_fma_f64 v[104:105], v[90:91], s[2:3], -v[104:105]
	v_fma_f64 v[144:145], v[96:97], s[2:3], -v[112:113]
	v_fma_f64 v[112:113], v[96:97], s[2:3], v[112:113]
	v_add_f64 v[128:129], v[34:35], v[128:129]
	s_mov_b32 s20, 0xd9c712b6
	s_mov_b32 s21, 0x3fda9628
	v_mul_f64 v[120:121], v[64:65], s[22:23]
	v_mul_f64 v[132:133], v[74:75], s[28:29]
	;; [unrolled: 1-line block ×3, first 2 shown]
	v_add_f64 v[2:3], v[2:3], v[24:25]
	v_fma_f64 v[24:25], v[84:85], s[20:21], v[102:103]
	v_fma_f64 v[148:149], v[94:95], s[20:21], -v[108:109]
	v_fma_f64 v[102:103], v[84:85], s[20:21], -v[102:103]
	;; [unrolled: 1-line block ×3, first 2 shown]
	v_fma_f64 v[108:109], v[94:95], s[20:21], v[108:109]
	v_fma_f64 v[126:127], v[68:69], s[0:1], -v[126:127]
	v_fma_f64 v[134:135], v[76:77], s[0:1], v[134:135]
	v_add_f64 v[86:87], v[114:115], v[86:87]
	v_add_f64 v[58:59], v[78:79], v[58:59]
	;; [unrolled: 1-line block ×4, first 2 shown]
	v_mul_f64 v[78:79], v[46:47], s[30:31]
	v_mul_f64 v[114:115], v[52:53], s[30:31]
	v_fma_f64 v[116:117], v[54:55], s[0:1], v[124:125]
	v_mul_f64 v[80:81], v[74:75], s[24:25]
	v_add_f64 v[98:99], v[34:35], v[98:99]
	v_add_f64 v[110:111], v[32:33], v[110:111]
	v_add_f64 v[0:1], v[0:1], v[22:23]
	v_add_f64 v[128:129], v[146:147], v[128:129]
	v_add_f64 v[146:147], v[32:33], v[150:151]
	v_add_f64 v[62:63], v[8:9], -v[10:11]
	v_add_f64 v[70:71], v[12:13], -v[16:17]
	v_mul_f64 v[130:131], v[72:73], s[22:23]
	v_add_f64 v[142:143], v[32:33], v[142:143]
	v_fma_f64 v[150:151], v[96:97], s[4:5], -v[132:133]
	v_fma_f64 v[132:133], v[96:97], s[4:5], v[132:133]
	v_add_f64 v[2:3], v[2:3], v[44:45]
	v_fma_f64 v[124:125], v[54:55], s[0:1], -v[124:125]
	v_add_f64 v[82:83], v[12:13], v[16:17]
	v_add_f64 v[86:87], v[140:141], v[86:87]
	;; [unrolled: 1-line block ×5, first 2 shown]
	v_fma_f64 v[104:105], v[68:69], s[18:19], v[78:79]
	v_fma_f64 v[144:145], v[76:77], s[18:19], -v[114:115]
	v_add_f64 v[112:113], v[34:35], v[116:117]
	v_fma_f64 v[116:117], v[90:91], s[4:5], v[122:123]
	v_fma_f64 v[122:123], v[90:91], s[4:5], -v[122:123]
	v_add_f64 v[98:99], v[126:127], v[98:99]
	v_add_f64 v[110:111], v[134:135], v[110:111]
	v_fma_f64 v[134:135], v[96:97], s[20:21], -v[80:81]
	v_add_f64 v[0:1], v[0:1], v[30:31]
	v_mul_f64 v[118:119], v[62:63], s[24:25]
	v_fma_f64 v[30:31], v[84:85], s[18:19], -v[120:121]
	v_fma_f64 v[114:115], v[76:77], s[18:19], v[114:115]
	v_add_f64 v[142:143], v[152:153], v[142:143]
	v_fma_f64 v[78:79], v[68:69], s[18:19], -v[78:79]
	v_add_f64 v[92:93], v[8:9], v[10:11]
	v_add_f64 v[2:3], v[2:3], v[4:5]
	v_mul_f64 v[4:5], v[28:29], s[28:29]
	v_mul_f64 v[100:101], v[62:63], s[16:17]
	v_add_f64 v[24:25], v[24:25], v[86:87]
	v_add_f64 v[58:59], v[102:103], v[58:59]
	v_fma_f64 v[102:103], v[56:57], s[0:1], v[136:137]
	v_add_f64 v[60:61], v[108:109], v[60:61]
	v_fma_f64 v[108:109], v[90:91], s[20:21], v[138:139]
	v_add_f64 v[136:137], v[144:145], v[146:147]
	v_add_f64 v[104:105], v[104:105], v[112:113]
	v_fma_f64 v[112:113], v[84:85], s[18:19], v[120:121]
	v_add_f64 v[116:117], v[116:117], v[128:129]
	v_mul_f64 v[128:129], v[72:73], s[28:29]
	v_add_f64 v[86:87], v[148:149], v[88:89]
	v_mul_f64 v[88:89], v[64:65], s[28:29]
	v_mul_f64 v[144:145], v[70:71], s[24:25]
	s_mov_b32 s25, 0xbfed1bb4
	v_fma_f64 v[146:147], v[94:95], s[18:19], -v[130:131]
	v_add_f64 v[44:45], v[122:123], v[98:99]
	v_fma_f64 v[98:99], v[94:95], s[18:19], v[130:131]
	v_add_f64 v[110:111], v[132:133], v[110:111]
	v_add_f64 v[0:1], v[0:1], v[18:19]
	;; [unrolled: 1-line block ×3, first 2 shown]
	v_mul_f64 v[18:19], v[28:29], s[24:25]
	v_add_f64 v[142:143], v[150:151], v[142:143]
	v_add_f64 v[2:3], v[2:3], v[12:13]
	v_fma_f64 v[126:127], v[82:83], s[20:21], v[118:119]
	v_add_f64 v[102:103], v[32:33], v[102:103]
	v_fma_f64 v[28:29], v[82:83], s[20:21], -v[118:119]
	v_fma_f64 v[118:119], v[90:91], s[20:21], -v[138:139]
	v_add_f64 v[132:133], v[134:135], v[136:137]
	v_add_f64 v[104:105], v[108:109], v[104:105]
	v_mul_f64 v[106:107], v[70:71], s[16:17]
	v_add_f64 v[108:109], v[112:113], v[116:117]
	v_mul_f64 v[112:113], v[26:27], s[24:25]
	v_fma_f64 v[130:131], v[94:95], s[4:5], -v[128:129]
	v_mul_f64 v[26:27], v[26:27], s[28:29]
	v_fma_f64 v[124:125], v[84:85], s[4:5], v[88:89]
	v_fma_f64 v[134:135], v[92:93], s[20:21], -v[144:145]
	v_mul_f64 v[122:123], v[62:63], s[14:15]
	v_add_f64 v[30:31], v[30:31], v[44:45]
	v_fma_f64 v[44:45], v[96:97], s[20:21], v[80:81]
	v_add_f64 v[98:99], v[98:99], v[110:111]
	v_mul_f64 v[110:111], v[46:47], s[14:15]
	v_mul_f64 v[46:47], v[46:47], s[24:25]
	v_add_f64 v[0:1], v[0:1], v[8:9]
	v_fma_f64 v[8:9], v[56:57], s[4:5], v[4:5]
	v_add_f64 v[78:79], v[78:79], v[120:121]
	v_fma_f64 v[12:13], v[56:57], s[20:21], v[18:19]
	v_add_f64 v[80:81], v[114:115], v[102:103]
	v_fma_f64 v[18:19], v[56:57], s[20:21], -v[18:19]
	v_fma_f64 v[4:5], v[56:57], s[4:5], -v[4:5]
	v_add_f64 v[136:137], v[146:147], v[142:143]
	v_add_f64 v[2:3], v[2:3], v[16:17]
	v_fma_f64 v[120:121], v[92:93], s[20:21], v[144:145]
	v_mul_f64 v[56:57], v[74:75], s[30:31]
	v_fma_f64 v[114:115], v[54:55], s[20:21], -v[112:113]
	v_add_f64 v[130:131], v[130:131], v[132:133]
	v_fma_f64 v[132:133], v[54:55], s[4:5], -v[26:27]
	v_add_f64 v[104:105], v[124:125], v[104:105]
	v_mul_f64 v[124:125], v[52:53], s[14:15]
	v_mul_f64 v[52:53], v[52:53], s[24:25]
	v_fma_f64 v[112:113], v[54:55], s[20:21], v[112:113]
	v_fma_f64 v[26:27], v[54:55], s[4:5], v[26:27]
	v_mul_f64 v[54:55], v[66:67], s[30:31]
	v_mul_f64 v[66:67], v[66:67], s[16:17]
	v_fma_f64 v[142:143], v[68:69], s[20:21], -v[46:47]
	v_add_f64 v[0:1], v[0:1], v[10:11]
	v_mul_f64 v[74:75], v[74:75], s[16:17]
	v_add_f64 v[8:9], v[32:33], v[8:9]
	v_add_f64 v[78:79], v[118:119], v[78:79]
	;; [unrolled: 1-line block ×3, first 2 shown]
	v_fma_f64 v[80:81], v[68:69], s[2:3], -v[110:111]
	v_fma_f64 v[118:119], v[94:95], s[4:5], v[128:129]
	v_add_f64 v[10:11], v[32:33], v[12:13]
	v_fma_f64 v[12:13], v[68:69], s[2:3], v[110:111]
	v_add_f64 v[18:19], v[32:33], v[18:19]
	;; [unrolled: 2-line block ×3, first 2 shown]
	v_add_f64 v[4:5], v[32:33], v[4:5]
	v_add_f64 v[132:133], v[34:35], v[132:133]
	v_mul_f64 v[32:33], v[64:65], s[26:27]
	v_fma_f64 v[128:129], v[76:77], s[2:3], v[124:125]
	v_fma_f64 v[144:145], v[76:77], s[20:21], v[52:53]
	v_add_f64 v[16:17], v[34:35], v[112:113]
	v_fma_f64 v[110:111], v[76:77], s[2:3], -v[124:125]
	v_add_f64 v[26:27], v[34:35], v[26:27]
	v_fma_f64 v[34:35], v[76:77], s[20:21], -v[52:53]
	v_fma_f64 v[68:69], v[90:91], s[18:19], -v[54:55]
	v_mul_f64 v[64:65], v[64:65], s[14:15]
	v_fma_f64 v[112:113], v[90:91], s[0:1], -v[66:67]
	v_add_f64 v[2:3], v[2:3], v[6:7]
	v_add_f64 v[0:1], v[0:1], v[20:21]
	v_mul_f64 v[52:53], v[72:73], s[26:27]
	v_mul_f64 v[72:73], v[72:73], s[14:15]
	v_fma_f64 v[124:125], v[96:97], s[0:1], v[74:75]
	v_fma_f64 v[20:21], v[90:91], s[0:1], v[66:67]
	v_mul_f64 v[116:117], v[70:71], s[14:15]
	v_fma_f64 v[88:89], v[84:85], s[4:5], -v[88:89]
	v_fma_f64 v[22:23], v[82:83], s[0:1], v[100:101]
	v_add_f64 v[76:77], v[80:81], v[114:115]
	v_fma_f64 v[80:81], v[96:97], s[18:19], v[56:57]
	v_add_f64 v[114:115], v[142:143], v[132:133]
	v_fma_f64 v[140:141], v[92:93], s[0:1], -v[106:107]
	v_fma_f64 v[100:101], v[82:83], s[0:1], -v[100:101]
	v_add_f64 v[6:7], v[144:145], v[8:9]
	v_add_f64 v[8:9], v[128:129], v[10:11]
	v_fma_f64 v[10:11], v[90:91], s[18:19], v[54:55]
	v_add_f64 v[12:13], v[12:13], v[16:17]
	v_fma_f64 v[16:17], v[96:97], s[18:19], -v[56:57]
	v_add_f64 v[18:19], v[110:111], v[18:19]
	v_add_f64 v[26:27], v[46:47], v[26:27]
	v_fma_f64 v[46:47], v[96:97], s[0:1], -v[74:75]
	v_add_f64 v[4:5], v[34:35], v[4:5]
	v_mul_f64 v[34:35], v[62:63], s[12:13]
	v_fma_f64 v[56:57], v[84:85], s[0:1], -v[32:33]
	v_fma_f64 v[74:75], v[84:85], s[2:3], -v[64:65]
	v_add_f64 v[2:3], v[2:3], v[42:43]
	v_add_f64 v[0:1], v[0:1], v[40:41]
	v_mul_f64 v[54:55], v[70:71], s[12:13]
	v_mul_f64 v[62:63], v[62:63], s[22:23]
	;; [unrolled: 1-line block ×3, first 2 shown]
	v_add_f64 v[66:67], v[68:69], v[76:77]
	v_fma_f64 v[90:91], v[94:95], s[2:3], v[72:73]
	v_add_f64 v[76:77], v[112:113], v[114:115]
	v_fma_f64 v[68:69], v[94:95], s[0:1], v[52:53]
	v_fma_f64 v[32:33], v[84:85], s[0:1], v[32:33]
	v_add_f64 v[6:7], v[124:125], v[6:7]
	v_add_f64 v[8:9], v[80:81], v[8:9]
	v_fma_f64 v[40:41], v[82:83], s[2:3], -v[122:123]
	v_add_f64 v[10:11], v[10:11], v[12:13]
	v_fma_f64 v[12:13], v[94:95], s[0:1], -v[52:53]
	v_add_f64 v[16:17], v[16:17], v[18:19]
	v_fma_f64 v[18:19], v[84:85], s[2:3], v[64:65]
	v_add_f64 v[20:21], v[20:21], v[26:27]
	v_fma_f64 v[26:27], v[94:95], s[2:3], -v[72:73]
	v_add_f64 v[4:5], v[46:47], v[4:5]
	v_add_f64 v[64:65], v[118:119], v[44:45]
	v_fma_f64 v[44:45], v[82:83], s[4:5], -v[34:35]
	v_add_f64 v[42:43], v[88:89], v[78:79]
	v_add_f64 v[36:37], v[0:1], v[36:37]
	v_fma_f64 v[52:53], v[92:93], s[2:3], v[116:117]
	v_fma_f64 v[106:107], v[92:93], s[0:1], v[106:107]
	;; [unrolled: 1-line block ×3, first 2 shown]
	v_add_f64 v[46:47], v[56:57], v[66:67]
	v_fma_f64 v[66:67], v[82:83], s[18:19], -v[62:63]
	v_add_f64 v[72:73], v[74:75], v[76:77]
	v_add_f64 v[76:77], v[2:3], v[38:39]
	v_fma_f64 v[74:75], v[92:93], s[18:19], v[70:71]
	v_add_f64 v[78:79], v[90:91], v[6:7]
	v_fma_f64 v[56:57], v[92:93], s[4:5], v[54:55]
	v_add_f64 v[68:69], v[68:69], v[8:9]
	v_fma_f64 v[138:139], v[92:93], s[2:3], -v[116:117]
	v_fma_f64 v[80:81], v[82:83], s[4:5], v[34:35]
	v_add_f64 v[84:85], v[32:33], v[10:11]
	v_fma_f64 v[88:89], v[92:93], s[4:5], -v[54:55]
	v_add_f64 v[12:13], v[12:13], v[16:17]
	v_fma_f64 v[62:63], v[82:83], s[18:19], v[62:63]
	v_add_f64 v[20:21], v[18:19], v[20:21]
	v_fma_f64 v[70:71], v[92:93], s[18:19], -v[70:71]
	v_add_f64 v[26:27], v[26:27], v[4:5]
	v_add_f64 v[34:35], v[40:41], v[42:43]
	;; [unrolled: 1-line block ×23, first 2 shown]
	v_lshl_add_u32 v12, v14, 4, v255
	ds_write_b128 v15, v[44:47]
	ds_write_b128 v12, v[40:43] offset:1152
	ds_write_b128 v12, v[36:39] offset:2304
	;; [unrolled: 1-line block ×10, first 2 shown]
.LBB0_37:
	s_or_b32 exec_lo, exec_lo, s33
	s_waitcnt lgkmcnt(0)
	s_barrier
	buffer_gl0_inv
	ds_read_b128 v[0:3], v15
	ds_read_b128 v[4:7], v15 offset:6336
	s_clause 0x1
	buffer_load_dword v8, off, s[40:43], 0 offset:4
	buffer_load_dword v9, off, s[40:43], 0 offset:8
	v_mad_u64_u32 v[20:21], null, s8, v14, 0
	s_mul_i32 s0, s9, 0x18c
	s_mul_hi_u32 s1, s8, 0x18c
	s_mul_i32 s4, s8, 0x18c
	s_add_i32 s5, s1, s0
	s_mov_b32 s2, 0xa052bf5b
	s_lshl_b64 s[4:5], s[4:5], 4
	s_mov_b32 s3, 0x3f54afd6
	s_mul_i32 s1, s9, 0xfffffecc
	ds_read_b128 v[16:19], v15 offset:7744
	s_waitcnt vmcnt(1)
	v_mov_b32_e32 v48, v8
	s_waitcnt vmcnt(0)
	ds_read_b128 v[8:11], v15 offset:1408
	ds_read_b128 v[32:35], v15 offset:2816
	ds_read_b128 v[36:39], v15 offset:9152
	s_clause 0x7
	buffer_load_dword v62, off, s[40:43], 0 offset:12
	buffer_load_dword v63, off, s[40:43], 0 offset:16
	;; [unrolled: 1-line block ×8, first 2 shown]
	ds_read_b128 v[40:43], v15 offset:4224
	ds_read_b128 v[44:47], v15 offset:10560
	v_mad_u64_u32 v[12:13], null, s10, v48, 0
	v_mad_u64_u32 v[48:49], null, s11, v48, v[13:14]
	v_mov_b32_e32 v13, v48
	v_lshlrev_b64 v[12:13], 4, v[12:13]
	s_waitcnt vmcnt(4) lgkmcnt(7)
	v_mul_f64 v[22:23], v[64:65], v[2:3]
	v_mul_f64 v[24:25], v[64:65], v[0:1]
	s_clause 0x7
	buffer_load_dword v64, off, s[40:43], 0 offset:28
	buffer_load_dword v65, off, s[40:43], 0 offset:32
	buffer_load_dword v66, off, s[40:43], 0 offset:36
	buffer_load_dword v67, off, s[40:43], 0 offset:40
	buffer_load_dword v70, off, s[40:43], 0 offset:76
	buffer_load_dword v71, off, s[40:43], 0 offset:80
	buffer_load_dword v72, off, s[40:43], 0 offset:84
	buffer_load_dword v73, off, s[40:43], 0 offset:88
	s_waitcnt vmcnt(8) lgkmcnt(6)
	v_mul_f64 v[26:27], v[78:79], v[6:7]
	v_mul_f64 v[28:29], v[78:79], v[4:5]
	v_mad_u64_u32 v[49:50], null, s9, v14, v[21:22]
	v_fma_f64 v[0:1], v[62:63], v[0:1], v[22:23]
	v_fma_f64 v[2:3], v[62:63], v[2:3], -v[24:25]
	v_fma_f64 v[4:5], v[76:77], v[4:5], v[26:27]
	v_fma_f64 v[6:7], v[76:77], v[6:7], -v[28:29]
	v_add_co_u32 v14, s0, s6, v12
	v_mov_b32_e32 v21, v49
	v_lshlrev_b64 v[20:21], 4, v[20:21]
	v_mul_f64 v[0:1], v[0:1], s[2:3]
	v_mul_f64 v[2:3], v[2:3], s[2:3]
	v_mul_f64 v[4:5], v[4:5], s[2:3]
	v_mul_f64 v[6:7], v[6:7], s[2:3]
	s_waitcnt vmcnt(4) lgkmcnt(4)
	v_mul_f64 v[30:31], v[66:67], v[10:11]
	v_mul_f64 v[50:51], v[66:67], v[8:9]
	s_waitcnt vmcnt(0)
	v_mul_f64 v[52:53], v[72:73], v[18:19]
	v_mul_f64 v[54:55], v[72:73], v[16:17]
	s_clause 0x7
	buffer_load_dword v66, off, s[40:43], 0 offset:60
	buffer_load_dword v67, off, s[40:43], 0 offset:64
	;; [unrolled: 1-line block ×8, first 2 shown]
	v_fma_f64 v[8:9], v[64:65], v[8:9], v[30:31]
	v_add_co_ci_u32_e64 v30, s0, s7, v13, s0
	v_add_co_u32 v48, s0, v14, v20
	v_fma_f64 v[10:11], v[64:65], v[10:11], -v[50:51]
	v_add_co_ci_u32_e64 v49, s0, v30, v21, s0
	v_fma_f64 v[16:17], v[70:71], v[16:17], v[52:53]
	v_fma_f64 v[18:19], v[70:71], v[18:19], -v[54:55]
	v_add_co_u32 v50, s0, v48, s4
	v_add_co_ci_u32_e64 v51, s0, s5, v49, s0
	s_mul_hi_u32 s0, s8, 0xfffffecc
	s_sub_i32 s0, s0, s8
	s_add_i32 s1, s0, s1
	s_mul_i32 s0, s8, 0xfffffecc
	s_lshl_b64 s[6:7], s[0:1], 4
	v_mul_f64 v[8:9], v[8:9], s[2:3]
	v_mul_f64 v[10:11], v[10:11], s[2:3]
	;; [unrolled: 1-line block ×4, first 2 shown]
	s_waitcnt vmcnt(4) lgkmcnt(3)
	v_mul_f64 v[58:59], v[68:69], v[32:33]
	s_waitcnt vmcnt(0) lgkmcnt(2)
	v_mul_f64 v[60:61], v[74:75], v[38:39]
	v_mul_f64 v[22:23], v[74:75], v[36:37]
	s_clause 0x3
	buffer_load_dword v74, off, s[40:43], 0 offset:124
	buffer_load_dword v75, off, s[40:43], 0 offset:128
	;; [unrolled: 1-line block ×4, first 2 shown]
	v_mul_f64 v[56:57], v[68:69], v[34:35]
	v_fma_f64 v[30:31], v[66:67], v[34:35], -v[58:59]
	v_fma_f64 v[34:35], v[72:73], v[38:39], -v[22:23]
	v_fma_f64 v[20:21], v[66:67], v[32:33], v[56:57]
	v_fma_f64 v[32:33], v[72:73], v[36:37], v[60:61]
	v_mul_f64 v[22:23], v[30:31], s[2:3]
	v_mul_f64 v[20:21], v[20:21], s[2:3]
	s_waitcnt vmcnt(0) lgkmcnt(1)
	v_mul_f64 v[24:25], v[76:77], v[42:43]
	v_mul_f64 v[26:27], v[76:77], v[40:41]
	s_clause 0x3
	buffer_load_dword v76, off, s[40:43], 0 offset:140
	buffer_load_dword v77, off, s[40:43], 0 offset:144
	;; [unrolled: 1-line block ×4, first 2 shown]
	global_store_dwordx4 v[48:49], v[0:3], off
	global_store_dwordx4 v[50:51], v[4:7], off
	v_fma_f64 v[36:37], v[74:75], v[40:41], v[24:25]
	v_fma_f64 v[38:39], v[74:75], v[42:43], -v[26:27]
	v_add_co_u32 v42, s0, v50, s6
	v_add_co_ci_u32_e64 v43, s0, s7, v51, s0
	v_mul_f64 v[26:27], v[34:35], s[2:3]
	v_mul_f64 v[24:25], v[32:33], s[2:3]
	global_store_dwordx4 v[42:43], v[8:11], off
	v_mul_f64 v[30:31], v[38:39], s[2:3]
	s_waitcnt vmcnt(0) lgkmcnt(0)
	v_mul_f64 v[12:13], v[78:79], v[44:45]
	v_mul_f64 v[28:29], v[78:79], v[46:47]
	v_fma_f64 v[12:13], v[76:77], v[46:47], -v[12:13]
	v_fma_f64 v[40:41], v[76:77], v[44:45], v[28:29]
	v_add_co_u32 v44, s0, v42, s4
	v_add_co_ci_u32_e64 v45, s0, s5, v43, s0
	v_mul_f64 v[28:29], v[36:37], s[2:3]
	v_mul_f64 v[34:35], v[12:13], s[2:3]
	v_add_co_u32 v12, s0, v44, s6
	v_add_co_ci_u32_e64 v13, s0, s7, v45, s0
	v_mul_f64 v[32:33], v[40:41], s[2:3]
	v_add_co_u32 v2, s0, v12, s4
	v_add_co_ci_u32_e64 v3, s0, s5, v13, s0
	v_add_co_u32 v4, s0, v2, s6
	v_add_co_ci_u32_e64 v5, s0, s7, v3, s0
	;; [unrolled: 2-line block ×3, first 2 shown]
	global_store_dwordx4 v[44:45], v[16:19], off
	global_store_dwordx4 v[12:13], v[20:23], off
	;; [unrolled: 1-line block ×5, first 2 shown]
	s_and_b32 exec_lo, exec_lo, vcc_lo
	s_cbranch_execz .LBB0_39
; %bb.38:
	s_clause 0x1
	buffer_load_dword v2, off, s[40:43], 0 offset:52
	buffer_load_dword v3, off, s[40:43], 0 offset:56
	v_add_co_u32 v0, vcc_lo, v0, s6
	v_add_co_ci_u32_e32 v1, vcc_lo, s7, v1, vcc_lo
	s_waitcnt vmcnt(0)
	global_load_dwordx4 v[2:5], v[2:3], off offset:1536
	s_clause 0x1
	buffer_load_dword v6, off, s[40:43], 0 offset:44
	buffer_load_dword v7, off, s[40:43], 0 offset:48
	s_waitcnt vmcnt(0)
	global_load_dwordx4 v[6:9], v[6:7], off offset:1728
	ds_read_b128 v[10:13], v15 offset:5632
	ds_read_b128 v[14:17], v15 offset:11968
	s_waitcnt lgkmcnt(1)
	v_mul_f64 v[18:19], v[12:13], v[4:5]
	v_mul_f64 v[4:5], v[10:11], v[4:5]
	v_fma_f64 v[10:11], v[10:11], v[2:3], v[18:19]
	v_fma_f64 v[4:5], v[2:3], v[12:13], -v[4:5]
	v_mul_f64 v[2:3], v[10:11], s[2:3]
	v_mul_f64 v[4:5], v[4:5], s[2:3]
	v_add_co_u32 v10, vcc_lo, v0, s4
	v_add_co_ci_u32_e32 v11, vcc_lo, s5, v1, vcc_lo
	s_waitcnt vmcnt(0) lgkmcnt(0)
	v_mul_f64 v[20:21], v[16:17], v[8:9]
	v_mul_f64 v[8:9], v[14:15], v[8:9]
	v_fma_f64 v[12:13], v[14:15], v[6:7], v[20:21]
	v_fma_f64 v[8:9], v[6:7], v[16:17], -v[8:9]
	v_mul_f64 v[6:7], v[12:13], s[2:3]
	v_mul_f64 v[8:9], v[8:9], s[2:3]
	global_store_dwordx4 v[0:1], v[2:5], off
	global_store_dwordx4 v[10:11], v[6:9], off
.LBB0_39:
	s_endpgm
	.section	.rodata,"a",@progbits
	.p2align	6, 0x0
	.amdhsa_kernel bluestein_single_back_len792_dim1_dp_op_CI_CI
		.amdhsa_group_segment_fixed_size 25344
		.amdhsa_private_segment_fixed_size 260
		.amdhsa_kernarg_size 104
		.amdhsa_user_sgpr_count 6
		.amdhsa_user_sgpr_private_segment_buffer 1
		.amdhsa_user_sgpr_dispatch_ptr 0
		.amdhsa_user_sgpr_queue_ptr 0
		.amdhsa_user_sgpr_kernarg_segment_ptr 1
		.amdhsa_user_sgpr_dispatch_id 0
		.amdhsa_user_sgpr_flat_scratch_init 0
		.amdhsa_user_sgpr_private_segment_size 0
		.amdhsa_wavefront_size32 1
		.amdhsa_uses_dynamic_stack 0
		.amdhsa_system_sgpr_private_segment_wavefront_offset 1
		.amdhsa_system_sgpr_workgroup_id_x 1
		.amdhsa_system_sgpr_workgroup_id_y 0
		.amdhsa_system_sgpr_workgroup_id_z 0
		.amdhsa_system_sgpr_workgroup_info 0
		.amdhsa_system_vgpr_workitem_id 0
		.amdhsa_next_free_vgpr 256
		.amdhsa_next_free_sgpr 44
		.amdhsa_reserve_vcc 1
		.amdhsa_reserve_flat_scratch 0
		.amdhsa_float_round_mode_32 0
		.amdhsa_float_round_mode_16_64 0
		.amdhsa_float_denorm_mode_32 3
		.amdhsa_float_denorm_mode_16_64 3
		.amdhsa_dx10_clamp 1
		.amdhsa_ieee_mode 1
		.amdhsa_fp16_overflow 0
		.amdhsa_workgroup_processor_mode 1
		.amdhsa_memory_ordered 1
		.amdhsa_forward_progress 0
		.amdhsa_shared_vgpr_count 0
		.amdhsa_exception_fp_ieee_invalid_op 0
		.amdhsa_exception_fp_denorm_src 0
		.amdhsa_exception_fp_ieee_div_zero 0
		.amdhsa_exception_fp_ieee_overflow 0
		.amdhsa_exception_fp_ieee_underflow 0
		.amdhsa_exception_fp_ieee_inexact 0
		.amdhsa_exception_int_div_zero 0
	.end_amdhsa_kernel
	.text
.Lfunc_end0:
	.size	bluestein_single_back_len792_dim1_dp_op_CI_CI, .Lfunc_end0-bluestein_single_back_len792_dim1_dp_op_CI_CI
                                        ; -- End function
	.section	.AMDGPU.csdata,"",@progbits
; Kernel info:
; codeLenInByte = 17608
; NumSgprs: 46
; NumVgprs: 256
; ScratchSize: 260
; MemoryBound: 0
; FloatMode: 240
; IeeeMode: 1
; LDSByteSize: 25344 bytes/workgroup (compile time only)
; SGPRBlocks: 5
; VGPRBlocks: 31
; NumSGPRsForWavesPerEU: 46
; NumVGPRsForWavesPerEU: 256
; Occupancy: 4
; WaveLimiterHint : 1
; COMPUTE_PGM_RSRC2:SCRATCH_EN: 1
; COMPUTE_PGM_RSRC2:USER_SGPR: 6
; COMPUTE_PGM_RSRC2:TRAP_HANDLER: 0
; COMPUTE_PGM_RSRC2:TGID_X_EN: 1
; COMPUTE_PGM_RSRC2:TGID_Y_EN: 0
; COMPUTE_PGM_RSRC2:TGID_Z_EN: 0
; COMPUTE_PGM_RSRC2:TIDIG_COMP_CNT: 0
	.text
	.p2alignl 6, 3214868480
	.fill 48, 4, 3214868480
	.type	__hip_cuid_2d193a988686713d,@object ; @__hip_cuid_2d193a988686713d
	.section	.bss,"aw",@nobits
	.globl	__hip_cuid_2d193a988686713d
__hip_cuid_2d193a988686713d:
	.byte	0                               ; 0x0
	.size	__hip_cuid_2d193a988686713d, 1

	.ident	"AMD clang version 19.0.0git (https://github.com/RadeonOpenCompute/llvm-project roc-6.4.0 25133 c7fe45cf4b819c5991fe208aaa96edf142730f1d)"
	.section	".note.GNU-stack","",@progbits
	.addrsig
	.addrsig_sym __hip_cuid_2d193a988686713d
	.amdgpu_metadata
---
amdhsa.kernels:
  - .args:
      - .actual_access:  read_only
        .address_space:  global
        .offset:         0
        .size:           8
        .value_kind:     global_buffer
      - .actual_access:  read_only
        .address_space:  global
        .offset:         8
        .size:           8
        .value_kind:     global_buffer
      - .actual_access:  read_only
        .address_space:  global
        .offset:         16
        .size:           8
        .value_kind:     global_buffer
      - .actual_access:  read_only
        .address_space:  global
        .offset:         24
        .size:           8
        .value_kind:     global_buffer
      - .actual_access:  read_only
        .address_space:  global
        .offset:         32
        .size:           8
        .value_kind:     global_buffer
      - .offset:         40
        .size:           8
        .value_kind:     by_value
      - .address_space:  global
        .offset:         48
        .size:           8
        .value_kind:     global_buffer
      - .address_space:  global
        .offset:         56
        .size:           8
        .value_kind:     global_buffer
      - .address_space:  global
        .offset:         64
        .size:           8
        .value_kind:     global_buffer
      - .address_space:  global
        .offset:         72
        .size:           8
        .value_kind:     global_buffer
      - .offset:         80
        .size:           4
        .value_kind:     by_value
      - .address_space:  global
        .offset:         88
        .size:           8
        .value_kind:     global_buffer
      - .address_space:  global
        .offset:         96
        .size:           8
        .value_kind:     global_buffer
    .group_segment_fixed_size: 25344
    .kernarg_segment_align: 8
    .kernarg_segment_size: 104
    .language:       OpenCL C
    .language_version:
      - 2
      - 0
    .max_flat_workgroup_size: 176
    .name:           bluestein_single_back_len792_dim1_dp_op_CI_CI
    .private_segment_fixed_size: 260
    .sgpr_count:     46
    .sgpr_spill_count: 0
    .symbol:         bluestein_single_back_len792_dim1_dp_op_CI_CI.kd
    .uniform_work_group_size: 1
    .uses_dynamic_stack: false
    .vgpr_count:     256
    .vgpr_spill_count: 64
    .wavefront_size: 32
    .workgroup_processor_mode: 1
amdhsa.target:   amdgcn-amd-amdhsa--gfx1030
amdhsa.version:
  - 1
  - 2
...

	.end_amdgpu_metadata
